;; amdgpu-corpus repo=ROCm/rocSPARSE kind=compiled arch=gfx950 opt=O3
	.amdgcn_target "amdgcn-amd-amdhsa--gfx950"
	.amdhsa_code_object_version 6
	.section	.text._ZN9rocsparseL36gtsv_interleaved_batch_thomas_kernelILj128EfEEviiiPKT0_S3_S3_PS1_S4_S4_,"axG",@progbits,_ZN9rocsparseL36gtsv_interleaved_batch_thomas_kernelILj128EfEEviiiPKT0_S3_S3_PS1_S4_S4_,comdat
	.globl	_ZN9rocsparseL36gtsv_interleaved_batch_thomas_kernelILj128EfEEviiiPKT0_S3_S3_PS1_S4_S4_ ; -- Begin function _ZN9rocsparseL36gtsv_interleaved_batch_thomas_kernelILj128EfEEviiiPKT0_S3_S3_PS1_S4_S4_
	.p2align	8
	.type	_ZN9rocsparseL36gtsv_interleaved_batch_thomas_kernelILj128EfEEviiiPKT0_S3_S3_PS1_S4_S4_,@function
_ZN9rocsparseL36gtsv_interleaved_batch_thomas_kernelILj128EfEEviiiPKT0_S3_S3_PS1_S4_S4_: ; @_ZN9rocsparseL36gtsv_interleaved_batch_thomas_kernelILj128EfEEviiiPKT0_S3_S3_PS1_S4_S4_
; %bb.0:
	s_load_dwordx4 s[16:19], s[0:1], 0x0
	s_lshl_b32 s22, s2, 7
	v_or_b32_e32 v2, s22, v0
	s_waitcnt lgkmcnt(0)
	v_cmp_gt_i32_e32 vcc, s17, v2
	s_and_saveexec_b64 s[2:3], vcc
	s_cbranch_execz .LBB0_9
; %bb.1:
	s_load_dwordx8 s[8:15], s[0:1], 0x18
	s_load_dwordx2 s[6:7], s[0:1], 0x38
	v_ashrrev_i32_e32 v3, 31, v2
	v_lshlrev_b64 v[10:11], 2, v[2:3]
	s_cmp_gt_i32 s16, 1
	s_waitcnt lgkmcnt(0)
	v_lshl_add_u64 v[2:3], s[10:11], 0, v[10:11]
	v_lshl_add_u64 v[4:5], s[8:9], 0, v[10:11]
	global_load_dword v1, v[2:3], off
	global_load_dword v8, v[4:5], off
	v_lshl_add_u64 v[2:3], s[6:7], 0, v[10:11]
	global_load_dword v9, v[2:3], off
	s_cselect_b64 s[20:21], -1, 0
	s_and_b64 s[2:3], exec, s[20:21]
	v_lshl_add_u64 v[4:5], s[12:13], 0, v[10:11]
	v_lshl_add_u64 v[6:7], s[14:15], 0, v[10:11]
	s_waitcnt vmcnt(1)
	v_div_scale_f32 v12, s[4:5], v8, v8, v1
	s_waitcnt vmcnt(0)
	v_div_scale_f32 v14, s[4:5], v8, v8, v9
	v_rcp_f32_e32 v15, v12
	v_rcp_f32_e32 v16, v14
	v_div_scale_f32 v13, vcc, v1, v8, v1
	v_fma_f32 v18, -v12, v15, 1.0
	v_fma_f32 v19, -v14, v16, 1.0
	v_fmac_f32_e32 v15, v18, v15
	v_div_scale_f32 v17, s[4:5], v9, v8, v9
	v_fmac_f32_e32 v16, v19, v16
	v_mul_f32_e32 v18, v13, v15
	v_mul_f32_e32 v19, v17, v16
	v_fma_f32 v20, -v12, v18, v13
	v_fma_f32 v21, -v14, v19, v17
	v_fmac_f32_e32 v18, v20, v15
	v_fmac_f32_e32 v19, v21, v16
	v_fma_f32 v12, -v12, v18, v13
	v_fma_f32 v13, -v14, v19, v17
	v_div_fmas_f32 v12, v12, v15, v18
	s_mov_b64 vcc, s[4:5]
	v_div_fixup_f32 v1, v12, v8, v1
	v_div_fmas_f32 v12, v13, v16, v19
	global_store_dword v[4:5], v1, off
	v_div_fixup_f32 v1, v12, v8, v9
	s_mov_b64 vcc, s[2:3]
	global_store_dword v[6:7], v1, off
	s_cbranch_vccnz .LBB0_3
; %bb.2:
	s_add_i32 s24, s16, -1
	s_cbranch_execz .LBB0_4
	s_branch .LBB0_6
.LBB0_3:
                                        ; implicit-def: $sgpr24
.LBB0_4:
	s_load_dwordx2 s[0:1], s[0:1], 0x10
	s_ashr_i32 s19, s18, 31
	s_ashr_i32 s5, s17, 31
	s_mov_b32 s4, s17
	s_add_i32 s24, s16, -1
	s_lshl_b64 s[2:3], s[18:19], 2
	s_add_i32 s22, s22, s18
	s_lshl_b64 s[4:5], s[4:5], 2
	v_lshl_add_u64 v[8:9], s[2:3], 0, v[10:11]
	v_add_u32_e32 v0, s22, v0
	v_lshl_add_u64 v[10:11], s[4:5], 0, v[10:11]
	s_mov_b32 s22, 0
	s_mov_b32 s19, s24
.LBB0_5:                                ; =>This Inner Loop Header: Depth=1
	v_ashrrev_i32_e32 v1, 31, v0
	s_ashr_i32 s23, s22, 31
	v_lshl_add_u64 v[14:15], s[8:9], 0, v[8:9]
	s_waitcnt lgkmcnt(0)
	v_lshl_add_u64 v[16:17], v[0:1], 2, s[0:1]
	s_lshl_b64 s[26:27], s[22:23], 2
	global_load_dword v15, v[14:15], off
	v_lshl_add_u64 v[18:19], v[4:5], 0, s[26:27]
	global_load_dword v16, v[16:17], off
	v_lshl_add_u64 v[12:13], s[10:11], 0, v[8:9]
	global_load_dword v1, v[18:19], off
	global_load_dword v17, v[12:13], off
	v_lshl_add_u64 v[12:13], s[6:7], 0, v[8:9]
	global_load_dword v14, v[12:13], off
	v_lshl_add_u64 v[12:13], v[6:7], 0, s[26:27]
	global_load_dword v12, v[12:13], off
	v_lshl_add_u64 v[20:21], s[12:13], 0, v[10:11]
	s_add_i32 s19, s19, -1
	s_add_i32 s22, s22, s17
	v_lshl_add_u64 v[8:9], v[8:9], 0, s[2:3]
	v_add_u32_e32 v0, s18, v0
	s_cmp_eq_u32 s19, 0
	s_waitcnt vmcnt(3)
	v_fma_f32 v1, -v16, v1, v15
	s_waitcnt vmcnt(2)
	v_div_scale_f32 v13, s[26:27], v1, v1, v17
	v_rcp_f32_e32 v23, v13
	v_div_scale_f32 v22, vcc, v17, v1, v17
	v_fma_f32 v24, -v13, v23, 1.0
	v_fmac_f32_e32 v23, v24, v23
	v_mul_f32_e32 v24, v22, v23
	v_fma_f32 v25, -v13, v24, v22
	v_fmac_f32_e32 v24, v25, v23
	v_fma_f32 v13, -v13, v24, v22
	v_div_fmas_f32 v13, v13, v23, v24
	v_div_fixup_f32 v1, v13, v1, v17
	global_store_dword v[20:21], v1, off
	global_load_dword v13, v[18:19], off
	v_lshl_add_u64 v[18:19], s[14:15], 0, v[10:11]
	v_lshl_add_u64 v[10:11], v[10:11], 0, s[4:5]
	s_waitcnt vmcnt(0)
	v_pk_fma_f32 v[12:13], v[16:17], v[12:13], v[14:15] op_sel_hi:[0,1,1] neg_lo:[1,0,0] neg_hi:[1,0,0]
	v_div_scale_f32 v1, s[26:27], v13, v13, v12
	v_rcp_f32_e32 v14, v1
	v_div_scale_f32 v15, vcc, v12, v13, v12
	v_fma_f32 v16, -v1, v14, 1.0
	v_fmac_f32_e32 v14, v16, v14
	v_mul_f32_e32 v16, v15, v14
	v_fma_f32 v17, -v1, v16, v15
	v_fmac_f32_e32 v16, v17, v14
	v_fma_f32 v1, -v1, v16, v15
	v_div_fmas_f32 v1, v1, v14, v16
	v_div_fixup_f32 v1, v1, v13, v12
	global_store_dword v[18:19], v1, off
	s_cbranch_scc0 .LBB0_5
.LBB0_6:
	s_mul_i32 s0, s17, s24
	s_ashr_i32 s1, s0, 31
	v_lshl_add_u64 v[0:1], s[0:1], 2, v[6:7]
	global_load_dword v8, v[0:1], off
	s_mul_i32 s0, s18, s24
	s_ashr_i32 s1, s0, 31
	v_lshl_add_u64 v[0:1], s[0:1], 2, v[2:3]
	s_andn2_b64 vcc, exec, s[20:21]
	s_waitcnt vmcnt(0)
	global_store_dword v[0:1], v8, off
	s_cbranch_vccnz .LBB0_9
; %bb.7:
	s_add_i32 s2, s16, -2
	s_mul_i32 s1, s18, s2
	s_mul_i32 s2, s17, s2
	s_mov_b32 s4, 0
.LBB0_8:                                ; =>This Inner Loop Header: Depth=1
	s_ashr_i32 s3, s2, 31
	s_add_i32 s6, s0, s4
	s_lshl_b64 s[8:9], s[2:3], 2
	s_ashr_i32 s7, s6, 31
	v_lshl_add_u64 v[0:1], v[6:7], 0, s[8:9]
	v_lshl_add_u64 v[8:9], v[4:5], 0, s[8:9]
	;; [unrolled: 1-line block ×3, first 2 shown]
	global_load_dword v12, v[0:1], off
	global_load_dword v13, v[8:9], off
	;; [unrolled: 1-line block ×3, first 2 shown]
	s_add_i32 s6, s1, s4
	s_add_i32 s24, s24, -1
	s_sub_i32 s4, s4, s18
	s_ashr_i32 s7, s6, 31
	s_sub_i32 s2, s2, s17
	v_lshl_add_u64 v[0:1], s[6:7], 2, v[2:3]
	s_cmp_lg_u32 s24, 0
	s_waitcnt vmcnt(0)
	v_fma_f32 v8, -v13, v14, v12
	global_store_dword v[0:1], v8, off
	s_cbranch_scc1 .LBB0_8
.LBB0_9:
	s_endpgm
	.section	.rodata,"a",@progbits
	.p2align	6, 0x0
	.amdhsa_kernel _ZN9rocsparseL36gtsv_interleaved_batch_thomas_kernelILj128EfEEviiiPKT0_S3_S3_PS1_S4_S4_
		.amdhsa_group_segment_fixed_size 0
		.amdhsa_private_segment_fixed_size 0
		.amdhsa_kernarg_size 64
		.amdhsa_user_sgpr_count 2
		.amdhsa_user_sgpr_dispatch_ptr 0
		.amdhsa_user_sgpr_queue_ptr 0
		.amdhsa_user_sgpr_kernarg_segment_ptr 1
		.amdhsa_user_sgpr_dispatch_id 0
		.amdhsa_user_sgpr_kernarg_preload_length 0
		.amdhsa_user_sgpr_kernarg_preload_offset 0
		.amdhsa_user_sgpr_private_segment_size 0
		.amdhsa_uses_dynamic_stack 0
		.amdhsa_enable_private_segment 0
		.amdhsa_system_sgpr_workgroup_id_x 1
		.amdhsa_system_sgpr_workgroup_id_y 0
		.amdhsa_system_sgpr_workgroup_id_z 0
		.amdhsa_system_sgpr_workgroup_info 0
		.amdhsa_system_vgpr_workitem_id 0
		.amdhsa_next_free_vgpr 26
		.amdhsa_next_free_sgpr 28
		.amdhsa_accum_offset 28
		.amdhsa_reserve_vcc 1
		.amdhsa_float_round_mode_32 0
		.amdhsa_float_round_mode_16_64 0
		.amdhsa_float_denorm_mode_32 3
		.amdhsa_float_denorm_mode_16_64 3
		.amdhsa_dx10_clamp 1
		.amdhsa_ieee_mode 1
		.amdhsa_fp16_overflow 0
		.amdhsa_tg_split 0
		.amdhsa_exception_fp_ieee_invalid_op 0
		.amdhsa_exception_fp_denorm_src 0
		.amdhsa_exception_fp_ieee_div_zero 0
		.amdhsa_exception_fp_ieee_overflow 0
		.amdhsa_exception_fp_ieee_underflow 0
		.amdhsa_exception_fp_ieee_inexact 0
		.amdhsa_exception_int_div_zero 0
	.end_amdhsa_kernel
	.section	.text._ZN9rocsparseL36gtsv_interleaved_batch_thomas_kernelILj128EfEEviiiPKT0_S3_S3_PS1_S4_S4_,"axG",@progbits,_ZN9rocsparseL36gtsv_interleaved_batch_thomas_kernelILj128EfEEviiiPKT0_S3_S3_PS1_S4_S4_,comdat
.Lfunc_end0:
	.size	_ZN9rocsparseL36gtsv_interleaved_batch_thomas_kernelILj128EfEEviiiPKT0_S3_S3_PS1_S4_S4_, .Lfunc_end0-_ZN9rocsparseL36gtsv_interleaved_batch_thomas_kernelILj128EfEEviiiPKT0_S3_S3_PS1_S4_S4_
                                        ; -- End function
	.set _ZN9rocsparseL36gtsv_interleaved_batch_thomas_kernelILj128EfEEviiiPKT0_S3_S3_PS1_S4_S4_.num_vgpr, 26
	.set _ZN9rocsparseL36gtsv_interleaved_batch_thomas_kernelILj128EfEEviiiPKT0_S3_S3_PS1_S4_S4_.num_agpr, 0
	.set _ZN9rocsparseL36gtsv_interleaved_batch_thomas_kernelILj128EfEEviiiPKT0_S3_S3_PS1_S4_S4_.numbered_sgpr, 28
	.set _ZN9rocsparseL36gtsv_interleaved_batch_thomas_kernelILj128EfEEviiiPKT0_S3_S3_PS1_S4_S4_.num_named_barrier, 0
	.set _ZN9rocsparseL36gtsv_interleaved_batch_thomas_kernelILj128EfEEviiiPKT0_S3_S3_PS1_S4_S4_.private_seg_size, 0
	.set _ZN9rocsparseL36gtsv_interleaved_batch_thomas_kernelILj128EfEEviiiPKT0_S3_S3_PS1_S4_S4_.uses_vcc, 1
	.set _ZN9rocsparseL36gtsv_interleaved_batch_thomas_kernelILj128EfEEviiiPKT0_S3_S3_PS1_S4_S4_.uses_flat_scratch, 0
	.set _ZN9rocsparseL36gtsv_interleaved_batch_thomas_kernelILj128EfEEviiiPKT0_S3_S3_PS1_S4_S4_.has_dyn_sized_stack, 0
	.set _ZN9rocsparseL36gtsv_interleaved_batch_thomas_kernelILj128EfEEviiiPKT0_S3_S3_PS1_S4_S4_.has_recursion, 0
	.set _ZN9rocsparseL36gtsv_interleaved_batch_thomas_kernelILj128EfEEviiiPKT0_S3_S3_PS1_S4_S4_.has_indirect_call, 0
	.section	.AMDGPU.csdata,"",@progbits
; Kernel info:
; codeLenInByte = 956
; TotalNumSgprs: 34
; NumVgprs: 26
; NumAgprs: 0
; TotalNumVgprs: 26
; ScratchSize: 0
; MemoryBound: 0
; FloatMode: 240
; IeeeMode: 1
; LDSByteSize: 0 bytes/workgroup (compile time only)
; SGPRBlocks: 4
; VGPRBlocks: 3
; NumSGPRsForWavesPerEU: 34
; NumVGPRsForWavesPerEU: 26
; AccumOffset: 28
; Occupancy: 8
; WaveLimiterHint : 0
; COMPUTE_PGM_RSRC2:SCRATCH_EN: 0
; COMPUTE_PGM_RSRC2:USER_SGPR: 2
; COMPUTE_PGM_RSRC2:TRAP_HANDLER: 0
; COMPUTE_PGM_RSRC2:TGID_X_EN: 1
; COMPUTE_PGM_RSRC2:TGID_Y_EN: 0
; COMPUTE_PGM_RSRC2:TGID_Z_EN: 0
; COMPUTE_PGM_RSRC2:TIDIG_COMP_CNT: 0
; COMPUTE_PGM_RSRC3_GFX90A:ACCUM_OFFSET: 6
; COMPUTE_PGM_RSRC3_GFX90A:TG_SPLIT: 0
	.section	.text._ZN9rocsparseL32gtsv_interleaved_batch_lu_kernelILj128EfEEviiiPT0_S2_S2_S2_PiS2_,"axG",@progbits,_ZN9rocsparseL32gtsv_interleaved_batch_lu_kernelILj128EfEEviiiPT0_S2_S2_S2_PiS2_,comdat
	.globl	_ZN9rocsparseL32gtsv_interleaved_batch_lu_kernelILj128EfEEviiiPT0_S2_S2_S2_PiS2_ ; -- Begin function _ZN9rocsparseL32gtsv_interleaved_batch_lu_kernelILj128EfEEviiiPT0_S2_S2_S2_PiS2_
	.p2align	8
	.type	_ZN9rocsparseL32gtsv_interleaved_batch_lu_kernelILj128EfEEviiiPT0_S2_S2_S2_PiS2_,@function
_ZN9rocsparseL32gtsv_interleaved_batch_lu_kernelILj128EfEEviiiPT0_S2_S2_S2_PiS2_: ; @_ZN9rocsparseL32gtsv_interleaved_batch_lu_kernelILj128EfEEviiiPT0_S2_S2_S2_PiS2_
; %bb.0:
	s_load_dwordx4 s[12:15], s[0:1], 0x0
	s_waitcnt lgkmcnt(0)
	s_lshl_b32 s15, s2, 7
	v_or_b32_e32 v2, s15, v0
	v_cmp_gt_i32_e32 vcc, s13, v2
	s_and_saveexec_b64 s[2:3], vcc
	s_cbranch_execz .LBB1_19
; %bb.1:
	s_load_dwordx8 s[4:11], s[0:1], 0x18
	s_load_dwordx2 s[2:3], s[0:1], 0x38
	v_ashrrev_i32_e32 v3, 31, v2
	s_add_i32 s20, s12, -1
	v_mov_b32_e32 v1, 0
	s_waitcnt lgkmcnt(0)
	v_lshl_add_u64 v[4:5], v[2:3], 2, s[10:11]
	s_cmp_lt_i32 s12, 2
	global_store_dword v[4:5], v1, off
	s_cbranch_scc1 .LBB1_16
; %bb.2:
	s_load_dwordx2 s[0:1], s[0:1], 0x10
	s_mov_b32 s21, 0
	s_branch .LBB1_4
.LBB1_3:                                ;   in Loop: Header=BB1_4 Depth=1
	s_or_b64 exec, exec, s[18:19]
	s_cmp_lg_u32 s21, s20
	s_cbranch_scc0 .LBB1_8
.LBB1_4:                                ; =>This Inner Loop Header: Depth=1
	s_mul_i32 s17, s21, s14
	v_add_u32_e32 v16, s17, v2
	v_add_u32_e32 v8, s14, v16
	v_ashrrev_i32_e32 v17, 31, v16
	v_ashrrev_i32_e32 v9, 31, v8
	v_lshl_add_u64 v[14:15], v[16:17], 2, s[4:5]
	s_waitcnt lgkmcnt(0)
	v_lshl_add_u64 v[6:7], v[8:9], 2, s[0:1]
	global_load_dword v3, v[14:15], off
	global_load_dword v1, v[6:7], off
	s_mov_b32 s16, s21
	s_mul_i32 s16, s16, s13
	v_lshlrev_b64 v[18:19], 2, v[8:9]
	s_add_i32 s21, s21, 1
	v_lshl_add_u64 v[10:11], s[4:5], 0, v[18:19]
	v_lshl_add_u64 v[8:9], s[6:7], 0, v[18:19]
	v_add_u32_e32 v12, s16, v2
	s_waitcnt vmcnt(0)
	v_cmp_nlt_f32_e64 s[18:19], |v3|, |v1|
	s_and_saveexec_b64 s[22:23], s[18:19]
	s_xor_b64 s[18:19], exec, s[22:23]
	s_cbranch_execnz .LBB1_6
; %bb.5:                                ;   in Loop: Header=BB1_4 Depth=1
	s_andn2_saveexec_b64 s[18:19], s[18:19]
	s_cbranch_execz .LBB1_3
	s_branch .LBB1_7
.LBB1_6:                                ;   in Loop: Header=BB1_4 Depth=1
	v_ashrrev_i32_e32 v13, 31, v12
	v_lshl_add_u64 v[14:15], v[16:17], 2, s[6:7]
	v_lshl_add_u64 v[12:13], v[12:13], 2, s[8:9]
	global_load_dword v18, v[10:11], off
	global_load_dword v16, v[14:15], off
	;; [unrolled: 1-line block ×3, first 2 shown]
	v_div_scale_f32 v15, s[24:25], v3, v3, v1
	global_load_dword v14, v[12:13], off
	v_rcp_f32_e32 v20, v15
	s_mul_i32 s22, s21, s13
	s_ashr_i32 s23, s22, 31
	v_mov_b32_e32 v21, s21
	v_lshl_add_u64 v[12:13], s[22:23], 2, v[4:5]
	global_store_dword v[12:13], v21, off
	v_fma_f32 v12, -v15, v20, 1.0
	v_div_scale_f32 v19, vcc, v1, v3, v1
	v_fmac_f32_e32 v20, v12, v20
	v_mul_f32_e32 v12, v19, v20
	v_fma_f32 v13, -v15, v12, v19
	v_fmac_f32_e32 v12, v13, v20
	v_fma_f32 v13, -v15, v12, v19
	v_div_fmas_f32 v12, v13, v20, v12
	v_div_fixup_f32 v1, v12, v3, v1
	global_store_dword v[6:7], v1, off
                                        ; implicit-def: $vgpr6_vgpr7
                                        ; implicit-def: $vgpr12
	s_waitcnt vmcnt(4)
	v_fma_f32 v3, -v1, v16, v18
	global_store_dword v[10:11], v3, off
                                        ; implicit-def: $vgpr3
                                        ; implicit-def: $vgpr18_vgpr19
                                        ; implicit-def: $vgpr10_vgpr11
	s_waitcnt vmcnt(3)
	v_fma_f32 v1, -v1, v14, v17
	global_store_dword v[8:9], v1, off
                                        ; implicit-def: $vgpr1
                                        ; implicit-def: $vgpr14_vgpr15
                                        ; implicit-def: $vgpr16_vgpr17
                                        ; implicit-def: $vgpr8_vgpr9
	s_andn2_saveexec_b64 s[18:19], s[18:19]
	s_cbranch_execz .LBB1_3
.LBB1_7:                                ;   in Loop: Header=BB1_4 Depth=1
	v_ashrrev_i32_e32 v13, 31, v12
	global_load_dword v26, v[10:11], off
	v_lshl_add_u64 v[20:21], v[12:13], 2, s[8:9]
	global_load_dword v27, v[20:21], off
	v_lshlrev_b64 v[16:17], 2, v[16:17]
	s_ashr_i32 s17, s16, 31
	v_lshl_add_u64 v[22:23], s[6:7], 0, v[16:17]
	global_load_dword v28, v[8:9], off
	v_lshl_add_u64 v[18:19], s[2:3], 0, v[18:19]
	v_lshl_add_u64 v[24:25], s[16:17], 2, v[4:5]
	;; [unrolled: 1-line block ×3, first 2 shown]
	global_load_dword v29, v[22:23], off
	global_load_dword v30, v[24:25], off
	;; [unrolled: 1-line block ×4, first 2 shown]
	v_add_u32_e32 v12, s13, v12
	v_ashrrev_i32_e32 v13, 31, v12
	v_lshl_add_u64 v[12:13], v[12:13], 2, s[10:11]
	s_waitcnt vmcnt(6)
	global_store_dword v[22:23], v26, off
	s_waitcnt vmcnt(6)
	global_store_dword v[8:9], v27, off
	global_load_dword v22, v[22:23], off
	v_mov_b32_e32 v26, s21
	global_store_dword v[14:15], v1, off
	v_div_scale_f32 v14, s[16:17], v1, v1, v3
	v_rcp_f32_e32 v23, v14
	global_store_dword v[24:25], v26, off
	v_div_scale_f32 v15, vcc, v3, v1, v3
	v_fma_f32 v24, -v14, v23, 1.0
	v_fmac_f32_e32 v23, v24, v23
	v_mul_f32_e32 v24, v15, v23
	v_fma_f32 v25, -v14, v24, v15
	v_fmac_f32_e32 v24, v25, v23
	v_fma_f32 v14, -v14, v24, v15
	v_div_fmas_f32 v14, v14, v23, v24
	v_div_fixup_f32 v1, v14, v1, v3
	global_store_dword v[6:7], v1, off
	s_waitcnt vmcnt(10)
	global_store_dword v[20:21], v28, off
	s_waitcnt vmcnt(9)
	;; [unrolled: 2-line block ×3, first 2 shown]
	global_store_dword v[16:17], v32, off
	global_store_dword v[18:19], v31, off
	v_fma_f32 v3, -v1, v28, v27
	s_waitcnt vmcnt(7)
	v_fma_f32 v1, -v1, v22, v29
	global_store_dword v[10:11], v1, off
	global_store_dword v[8:9], v3, off
	s_branch .LBB1_3
.LBB1_8:
	s_mov_b32 s21, 1
	v_mov_b32_e32 v1, 0
	s_branch .LBB1_11
.LBB1_9:                                ;   in Loop: Header=BB1_11 Depth=1
	s_or_b64 exec, exec, s[16:17]
	s_mul_i32 s16, s21, s14
	v_add_u32_e32 v6, s16, v2
	v_ashrrev_i32_e32 v7, 31, v6
	v_lshl_add_u64 v[6:7], v[6:7], 2, s[2:3]
	global_load_dword v1, v[6:7], off
	s_waitcnt vmcnt(0)
	v_add_f32_e32 v1, v3, v1
	global_store_dword v[6:7], v1, off
	v_mov_b32_e32 v1, s21
.LBB1_10:                               ;   in Loop: Header=BB1_11 Depth=1
	s_or_b64 exec, exec, s[10:11]
	s_add_i32 s21, s21, 1
	s_cmp_eq_u32 s21, s12
	s_cbranch_scc1 .LBB1_16
.LBB1_11:                               ; =>This Loop Header: Depth=1
                                        ;     Child Loop BB1_14 Depth 2
	s_mul_i32 s10, s21, s13
	s_ashr_i32 s11, s10, 31
	v_lshl_add_u64 v[6:7], s[10:11], 2, v[4:5]
	global_load_dword v3, v[6:7], off
	s_waitcnt vmcnt(0)
	v_cmp_ge_i32_e32 vcc, s21, v3
	s_and_saveexec_b64 s[10:11], vcc
	s_cbranch_execz .LBB1_10
; %bb.12:                               ;   in Loop: Header=BB1_11 Depth=1
	v_cmp_gt_u32_e32 vcc, s21, v1
	v_mov_b32_e32 v3, 0
	s_and_saveexec_b64 s[16:17], vcc
	s_cbranch_execz .LBB1_9
; %bb.13:                               ;   in Loop: Header=BB1_11 Depth=1
	v_mul_lo_u32 v6, s14, v1
	v_add_u32_e32 v7, s14, v6
	v_mov_b32_e32 v3, 0
	s_mov_b64 s[18:19], 0
	v_mov_b32_e32 v8, v2
.LBB1_14:                               ;   Parent Loop BB1_11 Depth=1
                                        ; =>  This Inner Loop Header: Depth=2
	v_add_u32_e32 v10, v7, v8
	v_add_u32_e32 v12, v6, v8
	v_ashrrev_i32_e32 v11, 31, v10
	v_ashrrev_i32_e32 v13, 31, v12
	v_lshl_add_u64 v[10:11], v[10:11], 2, s[0:1]
	v_lshl_add_u64 v[12:13], v[12:13], 2, s[2:3]
	global_load_dword v9, v[10:11], off
	global_load_dword v14, v[12:13], off
	v_add_u32_e32 v1, 1, v1
	v_cmp_le_u32_e32 vcc, s21, v1
	v_add_u32_e32 v8, s14, v8
	s_or_b64 s[18:19], vcc, s[18:19]
	s_waitcnt vmcnt(0)
	v_fma_f32 v3, -v9, v14, v3
	s_andn2_b64 exec, exec, s[18:19]
	s_cbranch_execnz .LBB1_14
; %bb.15:                               ;   in Loop: Header=BB1_11 Depth=1
	s_or_b64 exec, exec, s[18:19]
	s_branch .LBB1_9
.LBB1_16:
	s_mul_i32 s0, s14, s20
	v_add_u32_e32 v4, s0, v2
	v_ashrrev_i32_e32 v5, 31, v4
	v_lshlrev_b64 v[4:5], 2, v[4:5]
	v_lshl_add_u64 v[6:7], s[2:3], 0, v[4:5]
	v_lshl_add_u64 v[4:5], s[4:5], 0, v[4:5]
	global_load_dword v1, v[6:7], off
	global_load_dword v3, v[4:5], off
	s_sub_i32 s1, s0, s14
	v_add_u32_e32 v4, s1, v2
	v_ashrrev_i32_e32 v5, 31, v4
	v_lshlrev_b64 v[4:5], 2, v[4:5]
	v_lshl_add_u64 v[10:11], s[6:7], 0, v[4:5]
	global_load_dword v10, v[10:11], off
	v_lshl_add_u64 v[8:9], s[2:3], 0, v[4:5]
	v_lshl_add_u64 v[4:5], s[4:5], 0, v[4:5]
	global_load_dword v4, v[4:5], off
	s_cmp_lt_i32 s12, 3
	s_waitcnt vmcnt(2)
	v_div_scale_f32 v12, s[10:11], v3, v3, v1
	v_rcp_f32_e32 v13, v12
	v_div_scale_f32 v11, vcc, v1, v3, v1
	v_fma_f32 v14, -v12, v13, 1.0
	v_fmac_f32_e32 v13, v14, v13
	v_mul_f32_e32 v14, v11, v13
	v_fma_f32 v15, -v12, v14, v11
	v_fmac_f32_e32 v14, v15, v13
	v_fma_f32 v11, -v12, v14, v11
	v_div_fmas_f32 v11, v11, v13, v14
	v_div_fixup_f32 v1, v11, v3, v1
	global_store_dword v[6:7], v1, off
	global_load_dword v3, v[8:9], off
	s_waitcnt vmcnt(0)
	v_fma_f32 v1, -v1, v10, v3
	v_div_scale_f32 v3, s[10:11], v4, v4, v1
	v_rcp_f32_e32 v5, v3
	v_div_scale_f32 v6, vcc, v1, v4, v1
	v_fma_f32 v7, -v3, v5, 1.0
	v_fmac_f32_e32 v5, v7, v5
	v_mul_f32_e32 v7, v6, v5
	v_fma_f32 v10, -v3, v7, v6
	v_fmac_f32_e32 v7, v10, v5
	v_fma_f32 v3, -v3, v7, v6
	v_div_fmas_f32 v3, v3, v5, v7
	v_div_fixup_f32 v1, v3, v4, v1
	global_store_dword v[8:9], v1, off
	s_cbranch_scc1 .LBB1_19
; %bb.17:
	s_add_i32 s11, s12, -3
	s_mul_i32 s10, s13, s11
	s_add_i32 s1, s12, -2
	s_add_i32 s15, s15, s10
	v_add_u32_e32 v0, s15, v0
	s_mul_i32 s10, s14, s1
	s_mul_i32 s11, s14, s11
.LBB1_18:                               ; =>This Inner Loop Header: Depth=1
	v_add_u32_e32 v6, s10, v2
	v_add_u32_e32 v4, s11, v2
	v_add_u32_e32 v8, s0, v2
	v_ashrrev_i32_e32 v1, 31, v0
	v_ashrrev_i32_e32 v7, 31, v6
	;; [unrolled: 1-line block ×3, first 2 shown]
	v_lshl_add_u64 v[10:11], v[0:1], 2, s[8:9]
	v_ashrrev_i32_e32 v9, 31, v8
	v_lshl_add_u64 v[6:7], v[6:7], 2, s[2:3]
	v_lshlrev_b64 v[4:5], 2, v[4:5]
	global_load_dword v11, v[10:11], off
	v_lshl_add_u64 v[8:9], v[8:9], 2, s[2:3]
	global_load_dword v16, v[6:7], off
	global_load_dword v17, v[8:9], off
	v_lshl_add_u64 v[14:15], s[6:7], 0, v[4:5]
	v_lshl_add_u64 v[12:13], s[2:3], 0, v[4:5]
	;; [unrolled: 1-line block ×3, first 2 shown]
	global_load_dword v10, v[14:15], off
	global_load_dword v1, v[12:13], off
	;; [unrolled: 1-line block ×3, first 2 shown]
	s_add_i32 s1, s1, -1
	v_subrev_u32_e32 v2, s14, v2
	v_subrev_u32_e32 v0, s13, v0
	s_cmp_lg_u32 s1, 0
	s_waitcnt vmcnt(2)
	v_pk_mul_f32 v[4:5], v[10:11], v[16:17]
	s_waitcnt vmcnt(1)
	v_sub_f32_e32 v1, v1, v4
	v_sub_f32_e32 v1, v1, v5
	s_waitcnt vmcnt(0)
	v_div_scale_f32 v4, s[16:17], v3, v3, v1
	v_rcp_f32_e32 v5, v4
	v_div_scale_f32 v6, vcc, v1, v3, v1
	v_fma_f32 v7, -v4, v5, 1.0
	v_fmac_f32_e32 v5, v7, v5
	v_mul_f32_e32 v7, v6, v5
	v_fma_f32 v8, -v4, v7, v6
	v_fmac_f32_e32 v7, v8, v5
	v_fma_f32 v4, -v4, v7, v6
	v_div_fmas_f32 v4, v4, v5, v7
	v_div_fixup_f32 v1, v4, v3, v1
	global_store_dword v[12:13], v1, off
	s_cbranch_scc1 .LBB1_18
.LBB1_19:
	s_endpgm
	.section	.rodata,"a",@progbits
	.p2align	6, 0x0
	.amdhsa_kernel _ZN9rocsparseL32gtsv_interleaved_batch_lu_kernelILj128EfEEviiiPT0_S2_S2_S2_PiS2_
		.amdhsa_group_segment_fixed_size 0
		.amdhsa_private_segment_fixed_size 0
		.amdhsa_kernarg_size 64
		.amdhsa_user_sgpr_count 2
		.amdhsa_user_sgpr_dispatch_ptr 0
		.amdhsa_user_sgpr_queue_ptr 0
		.amdhsa_user_sgpr_kernarg_segment_ptr 1
		.amdhsa_user_sgpr_dispatch_id 0
		.amdhsa_user_sgpr_kernarg_preload_length 0
		.amdhsa_user_sgpr_kernarg_preload_offset 0
		.amdhsa_user_sgpr_private_segment_size 0
		.amdhsa_uses_dynamic_stack 0
		.amdhsa_enable_private_segment 0
		.amdhsa_system_sgpr_workgroup_id_x 1
		.amdhsa_system_sgpr_workgroup_id_y 0
		.amdhsa_system_sgpr_workgroup_id_z 0
		.amdhsa_system_sgpr_workgroup_info 0
		.amdhsa_system_vgpr_workitem_id 0
		.amdhsa_next_free_vgpr 33
		.amdhsa_next_free_sgpr 26
		.amdhsa_accum_offset 36
		.amdhsa_reserve_vcc 1
		.amdhsa_float_round_mode_32 0
		.amdhsa_float_round_mode_16_64 0
		.amdhsa_float_denorm_mode_32 3
		.amdhsa_float_denorm_mode_16_64 3
		.amdhsa_dx10_clamp 1
		.amdhsa_ieee_mode 1
		.amdhsa_fp16_overflow 0
		.amdhsa_tg_split 0
		.amdhsa_exception_fp_ieee_invalid_op 0
		.amdhsa_exception_fp_denorm_src 0
		.amdhsa_exception_fp_ieee_div_zero 0
		.amdhsa_exception_fp_ieee_overflow 0
		.amdhsa_exception_fp_ieee_underflow 0
		.amdhsa_exception_fp_ieee_inexact 0
		.amdhsa_exception_int_div_zero 0
	.end_amdhsa_kernel
	.section	.text._ZN9rocsparseL32gtsv_interleaved_batch_lu_kernelILj128EfEEviiiPT0_S2_S2_S2_PiS2_,"axG",@progbits,_ZN9rocsparseL32gtsv_interleaved_batch_lu_kernelILj128EfEEviiiPT0_S2_S2_S2_PiS2_,comdat
.Lfunc_end1:
	.size	_ZN9rocsparseL32gtsv_interleaved_batch_lu_kernelILj128EfEEviiiPT0_S2_S2_S2_PiS2_, .Lfunc_end1-_ZN9rocsparseL32gtsv_interleaved_batch_lu_kernelILj128EfEEviiiPT0_S2_S2_S2_PiS2_
                                        ; -- End function
	.set _ZN9rocsparseL32gtsv_interleaved_batch_lu_kernelILj128EfEEviiiPT0_S2_S2_S2_PiS2_.num_vgpr, 33
	.set _ZN9rocsparseL32gtsv_interleaved_batch_lu_kernelILj128EfEEviiiPT0_S2_S2_S2_PiS2_.num_agpr, 0
	.set _ZN9rocsparseL32gtsv_interleaved_batch_lu_kernelILj128EfEEviiiPT0_S2_S2_S2_PiS2_.numbered_sgpr, 26
	.set _ZN9rocsparseL32gtsv_interleaved_batch_lu_kernelILj128EfEEviiiPT0_S2_S2_S2_PiS2_.num_named_barrier, 0
	.set _ZN9rocsparseL32gtsv_interleaved_batch_lu_kernelILj128EfEEviiiPT0_S2_S2_S2_PiS2_.private_seg_size, 0
	.set _ZN9rocsparseL32gtsv_interleaved_batch_lu_kernelILj128EfEEviiiPT0_S2_S2_S2_PiS2_.uses_vcc, 1
	.set _ZN9rocsparseL32gtsv_interleaved_batch_lu_kernelILj128EfEEviiiPT0_S2_S2_S2_PiS2_.uses_flat_scratch, 0
	.set _ZN9rocsparseL32gtsv_interleaved_batch_lu_kernelILj128EfEEviiiPT0_S2_S2_S2_PiS2_.has_dyn_sized_stack, 0
	.set _ZN9rocsparseL32gtsv_interleaved_batch_lu_kernelILj128EfEEviiiPT0_S2_S2_S2_PiS2_.has_recursion, 0
	.set _ZN9rocsparseL32gtsv_interleaved_batch_lu_kernelILj128EfEEviiiPT0_S2_S2_S2_PiS2_.has_indirect_call, 0
	.section	.AMDGPU.csdata,"",@progbits
; Kernel info:
; codeLenInByte = 1648
; TotalNumSgprs: 32
; NumVgprs: 33
; NumAgprs: 0
; TotalNumVgprs: 33
; ScratchSize: 0
; MemoryBound: 0
; FloatMode: 240
; IeeeMode: 1
; LDSByteSize: 0 bytes/workgroup (compile time only)
; SGPRBlocks: 3
; VGPRBlocks: 4
; NumSGPRsForWavesPerEU: 32
; NumVGPRsForWavesPerEU: 33
; AccumOffset: 36
; Occupancy: 8
; WaveLimiterHint : 0
; COMPUTE_PGM_RSRC2:SCRATCH_EN: 0
; COMPUTE_PGM_RSRC2:USER_SGPR: 2
; COMPUTE_PGM_RSRC2:TRAP_HANDLER: 0
; COMPUTE_PGM_RSRC2:TGID_X_EN: 1
; COMPUTE_PGM_RSRC2:TGID_Y_EN: 0
; COMPUTE_PGM_RSRC2:TGID_Z_EN: 0
; COMPUTE_PGM_RSRC2:TIDIG_COMP_CNT: 0
; COMPUTE_PGM_RSRC3_GFX90A:ACCUM_OFFSET: 8
; COMPUTE_PGM_RSRC3_GFX90A:TG_SPLIT: 0
	.section	.text._ZN9rocsparseL32gtsv_interleaved_batch_qr_kernelILj128EfEEviiiPKT0_PS1_S4_S4_S4_,"axG",@progbits,_ZN9rocsparseL32gtsv_interleaved_batch_qr_kernelILj128EfEEviiiPKT0_PS1_S4_S4_S4_,comdat
	.globl	_ZN9rocsparseL32gtsv_interleaved_batch_qr_kernelILj128EfEEviiiPKT0_PS1_S4_S4_S4_ ; -- Begin function _ZN9rocsparseL32gtsv_interleaved_batch_qr_kernelILj128EfEEviiiPKT0_PS1_S4_S4_S4_
	.p2align	8
	.type	_ZN9rocsparseL32gtsv_interleaved_batch_qr_kernelILj128EfEEviiiPKT0_PS1_S4_S4_S4_,@function
_ZN9rocsparseL32gtsv_interleaved_batch_qr_kernelILj128EfEEviiiPKT0_PS1_S4_S4_S4_: ; @_ZN9rocsparseL32gtsv_interleaved_batch_qr_kernelILj128EfEEviiiPKT0_PS1_S4_S4_S4_
; %bb.0:
	s_load_dwordx4 s[12:15], s[0:1], 0x0
	s_waitcnt lgkmcnt(0)
	s_lshl_b32 s15, s2, 7
	v_or_b32_e32 v2, s15, v0
	v_cmp_gt_i32_e32 vcc, s13, v2
	s_and_saveexec_b64 s[2:3], vcc
	s_cbranch_execz .LBB2_7
; %bb.1:
	s_load_dwordx8 s[4:11], s[0:1], 0x18
	s_add_i32 s16, s12, -1
	s_cmp_lt_i32 s12, 2
	s_cbranch_scc1 .LBB2_4
; %bb.2:
	v_ashrrev_i32_e32 v3, 31, v2
	v_lshlrev_b64 v[6:7], 2, v[2:3]
	s_waitcnt lgkmcnt(0)
	v_lshl_add_u64 v[4:5], s[4:5], 0, v[6:7]
	v_lshl_add_u64 v[8:9], s[6:7], 0, v[6:7]
	;; [unrolled: 1-line block ×3, first 2 shown]
	global_load_dword v5, v[4:5], off
	s_load_dwordx2 s[2:3], s[0:1], 0x10
	global_load_dword v1, v[8:9], off
	global_load_dword v3, v[6:7], off
	s_mov_b32 s17, 0xf800000
	v_mov_b32_e32 v10, 0x260
	v_mov_b32_e32 v8, v2
	s_mov_b32 s18, s16
	v_mov_b32_e32 v6, v2
.LBB2_3:                                ; =>This Inner Loop Header: Depth=1
	v_add_u32_e32 v12, s14, v8
	v_ashrrev_i32_e32 v13, 31, v12
	v_lshlrev_b64 v[14:15], 2, v[12:13]
	s_waitcnt lgkmcnt(0)
	v_lshl_add_u64 v[16:17], s[2:3], 0, v[14:15]
	global_load_dword v4, v[16:17], off
	v_lshl_add_u64 v[16:17], s[4:5], 0, v[14:15]
	v_lshl_add_u64 v[18:19], s[6:7], 0, v[14:15]
	;; [unrolled: 1-line block ×3, first 2 shown]
	global_load_dword v11, v[16:17], off
	global_load_dword v28, v[14:15], off
	;; [unrolled: 1-line block ×3, first 2 shown]
	v_ashrrev_i32_e32 v7, 31, v6
	v_ashrrev_i32_e32 v9, 31, v8
	v_lshl_add_u64 v[22:23], v[6:7], 2, s[8:9]
	v_lshlrev_b64 v[20:21], 2, v[8:9]
	s_add_i32 s18, s18, -1
	v_add_u32_e32 v6, s13, v6
	s_cmp_eq_u32 s18, 0
	v_mov_b32_e32 v8, v12
	v_lshl_add_u64 v[12:13], s[4:5], 0, v[20:21]
	v_lshl_add_u64 v[24:25], s[6:7], 0, v[20:21]
	;; [unrolled: 1-line block ×3, first 2 shown]
	s_waitcnt vmcnt(3)
	v_pk_mul_f32 v[26:27], v[4:5], v[4:5]
	s_nop 0
	v_add_f32_e32 v7, v26, v27
	v_mul_f32_e32 v9, 0x4f800000, v7
	v_cmp_gt_f32_e32 vcc, s17, v7
	s_nop 1
	v_cndmask_b32_e32 v7, v7, v9, vcc
	v_sqrt_f32_e32 v9, v7
	s_nop 0
	v_add_u32_e32 v26, -1, v9
	v_add_u32_e32 v27, 1, v9
	v_fma_f32 v30, -v26, v9, v7
	v_fma_f32 v31, -v27, v9, v7
	v_cmp_ge_f32_e64 s[0:1], 0, v30
	s_nop 1
	v_cndmask_b32_e64 v9, v9, v26, s[0:1]
	v_cmp_lt_f32_e64 s[0:1], 0, v31
	s_nop 1
	v_cndmask_b32_e64 v9, v9, v27, s[0:1]
	v_mul_f32_e32 v26, 0x37800000, v9
	v_cndmask_b32_e32 v9, v9, v26, vcc
	v_cmp_class_f32_e32 vcc, v7, v10
	s_nop 1
	v_cndmask_b32_e32 v7, v9, v7, vcc
	v_div_scale_f32 v9, s[0:1], v7, v7, v5
	v_div_scale_f32 v27, s[0:1], v7, v7, v4
	v_rcp_f32_e32 v31, v9
	v_rcp_f32_e32 v32, v27
	v_div_scale_f32 v26, vcc, v5, v7, v5
	v_fma_f32 v33, -v9, v31, 1.0
	v_fma_f32 v34, -v27, v32, 1.0
	v_fmac_f32_e32 v31, v33, v31
	v_div_scale_f32 v30, s[0:1], v4, v7, v4
	v_fmac_f32_e32 v32, v34, v32
	v_mul_f32_e32 v33, v26, v31
	v_mul_f32_e32 v34, v30, v32
	v_fma_f32 v35, -v9, v33, v26
	v_fma_f32 v36, -v27, v34, v30
	v_fmac_f32_e32 v33, v35, v31
	v_fmac_f32_e32 v34, v36, v32
	v_fma_f32 v9, -v9, v33, v26
	v_fma_f32 v26, -v27, v34, v30
	v_div_fmas_f32 v9, v9, v31, v33
	s_mov_b64 vcc, s[0:1]
	v_div_fmas_f32 v26, v26, v32, v34
	v_div_fixup_f32 v9, v9, v7, v5
	v_div_fixup_f32 v7, v26, v7, v4
	s_waitcnt vmcnt(2)
	v_mul_f32_e32 v26, v11, v9
	s_waitcnt vmcnt(1)
	v_mul_f32_e32 v27, v9, v28
	v_mul_f32_e32 v4, v4, v7
	;; [unrolled: 1-line block ×4, first 2 shown]
	s_waitcnt vmcnt(0)
	v_mul_f32_e32 v30, v29, v7
	v_fmac_f32_e32 v4, v5, v9
	v_fma_f32 v5, -v1, v7, v26
	v_fmac_f32_e32 v11, v1, v9
	v_mul_f32_e32 v1, v29, v9
	v_fmac_f32_e32 v28, v3, v9
	v_fma_f32 v3, -v3, v7, v27
	global_store_dword v[22:23], v30, off
	global_store_dword v[12:13], v4, off
	;; [unrolled: 1-line block ×7, first 2 shown]
	s_cbranch_scc0 .LBB2_3
.LBB2_4:
	s_mul_i32 s0, s14, s16
	v_add_u32_e32 v4, s0, v2
	v_ashrrev_i32_e32 v5, 31, v4
	v_lshlrev_b64 v[4:5], 2, v[4:5]
	s_waitcnt lgkmcnt(0)
	v_lshl_add_u64 v[6:7], s[10:11], 0, v[4:5]
	v_lshl_add_u64 v[4:5], s[4:5], 0, v[4:5]
	global_load_dword v1, v[6:7], off
	global_load_dword v3, v[4:5], off
	s_sub_i32 s1, s0, s14
	v_add_u32_e32 v4, s1, v2
	v_ashrrev_i32_e32 v5, 31, v4
	v_lshlrev_b64 v[4:5], 2, v[4:5]
	v_lshl_add_u64 v[10:11], s[6:7], 0, v[4:5]
	global_load_dword v10, v[10:11], off
	v_lshl_add_u64 v[8:9], s[10:11], 0, v[4:5]
	v_lshl_add_u64 v[4:5], s[4:5], 0, v[4:5]
	global_load_dword v4, v[4:5], off
	s_cmp_lt_i32 s12, 3
	s_waitcnt vmcnt(2)
	v_div_scale_f32 v12, s[2:3], v3, v3, v1
	v_rcp_f32_e32 v13, v12
	v_div_scale_f32 v11, vcc, v1, v3, v1
	v_fma_f32 v14, -v12, v13, 1.0
	v_fmac_f32_e32 v13, v14, v13
	v_mul_f32_e32 v14, v11, v13
	v_fma_f32 v15, -v12, v14, v11
	v_fmac_f32_e32 v14, v15, v13
	v_fma_f32 v11, -v12, v14, v11
	v_div_fmas_f32 v11, v11, v13, v14
	v_div_fixup_f32 v1, v11, v3, v1
	global_store_dword v[6:7], v1, off
	global_load_dword v3, v[8:9], off
	s_waitcnt vmcnt(0)
	v_fma_f32 v1, -v1, v10, v3
	v_div_scale_f32 v3, s[2:3], v4, v4, v1
	v_rcp_f32_e32 v5, v3
	v_div_scale_f32 v6, vcc, v1, v4, v1
	v_fma_f32 v7, -v3, v5, 1.0
	v_fmac_f32_e32 v5, v7, v5
	v_mul_f32_e32 v7, v6, v5
	v_fma_f32 v10, -v3, v7, v6
	v_fmac_f32_e32 v7, v10, v5
	v_fma_f32 v3, -v3, v7, v6
	v_div_fmas_f32 v3, v3, v5, v7
	v_div_fixup_f32 v1, v3, v4, v1
	global_store_dword v[8:9], v1, off
	s_cbranch_scc1 .LBB2_7
; %bb.5:
	s_add_i32 s3, s12, -3
	s_mul_i32 s2, s13, s3
	s_add_i32 s1, s12, -2
	s_add_i32 s15, s15, s2
	v_add_u32_e32 v0, s15, v0
	s_mul_i32 s2, s14, s1
	s_mul_i32 s3, s14, s3
.LBB2_6:                                ; =>This Inner Loop Header: Depth=1
	v_add_u32_e32 v6, s2, v2
	v_add_u32_e32 v4, s3, v2
	;; [unrolled: 1-line block ×3, first 2 shown]
	v_ashrrev_i32_e32 v1, 31, v0
	v_ashrrev_i32_e32 v7, 31, v6
	;; [unrolled: 1-line block ×3, first 2 shown]
	v_lshl_add_u64 v[10:11], v[0:1], 2, s[8:9]
	v_ashrrev_i32_e32 v9, 31, v8
	v_lshl_add_u64 v[6:7], v[6:7], 2, s[10:11]
	v_lshlrev_b64 v[4:5], 2, v[4:5]
	global_load_dword v11, v[10:11], off
	v_lshl_add_u64 v[8:9], v[8:9], 2, s[10:11]
	global_load_dword v16, v[6:7], off
	global_load_dword v17, v[8:9], off
	v_lshl_add_u64 v[14:15], s[6:7], 0, v[4:5]
	v_lshl_add_u64 v[12:13], s[10:11], 0, v[4:5]
	;; [unrolled: 1-line block ×3, first 2 shown]
	global_load_dword v10, v[14:15], off
	global_load_dword v1, v[12:13], off
	;; [unrolled: 1-line block ×3, first 2 shown]
	s_add_i32 s1, s1, -1
	v_subrev_u32_e32 v2, s14, v2
	v_subrev_u32_e32 v0, s13, v0
	s_cmp_lg_u32 s1, 0
	s_waitcnt vmcnt(2)
	v_pk_mul_f32 v[4:5], v[10:11], v[16:17]
	s_waitcnt vmcnt(1)
	v_sub_f32_e32 v1, v1, v4
	v_sub_f32_e32 v1, v1, v5
	s_waitcnt vmcnt(0)
	v_div_scale_f32 v4, s[16:17], v3, v3, v1
	v_rcp_f32_e32 v5, v4
	v_div_scale_f32 v6, vcc, v1, v3, v1
	v_fma_f32 v7, -v4, v5, 1.0
	v_fmac_f32_e32 v5, v7, v5
	v_mul_f32_e32 v7, v6, v5
	v_fma_f32 v8, -v4, v7, v6
	v_fmac_f32_e32 v7, v8, v5
	v_fma_f32 v4, -v4, v7, v6
	v_div_fmas_f32 v4, v4, v5, v7
	v_div_fixup_f32 v1, v4, v3, v1
	global_store_dword v[12:13], v1, off
	s_cbranch_scc1 .LBB2_6
.LBB2_7:
	s_endpgm
	.section	.rodata,"a",@progbits
	.p2align	6, 0x0
	.amdhsa_kernel _ZN9rocsparseL32gtsv_interleaved_batch_qr_kernelILj128EfEEviiiPKT0_PS1_S4_S4_S4_
		.amdhsa_group_segment_fixed_size 0
		.amdhsa_private_segment_fixed_size 0
		.amdhsa_kernarg_size 56
		.amdhsa_user_sgpr_count 2
		.amdhsa_user_sgpr_dispatch_ptr 0
		.amdhsa_user_sgpr_queue_ptr 0
		.amdhsa_user_sgpr_kernarg_segment_ptr 1
		.amdhsa_user_sgpr_dispatch_id 0
		.amdhsa_user_sgpr_kernarg_preload_length 0
		.amdhsa_user_sgpr_kernarg_preload_offset 0
		.amdhsa_user_sgpr_private_segment_size 0
		.amdhsa_uses_dynamic_stack 0
		.amdhsa_enable_private_segment 0
		.amdhsa_system_sgpr_workgroup_id_x 1
		.amdhsa_system_sgpr_workgroup_id_y 0
		.amdhsa_system_sgpr_workgroup_id_z 0
		.amdhsa_system_sgpr_workgroup_info 0
		.amdhsa_system_vgpr_workitem_id 0
		.amdhsa_next_free_vgpr 37
		.amdhsa_next_free_sgpr 19
		.amdhsa_accum_offset 40
		.amdhsa_reserve_vcc 1
		.amdhsa_float_round_mode_32 0
		.amdhsa_float_round_mode_16_64 0
		.amdhsa_float_denorm_mode_32 3
		.amdhsa_float_denorm_mode_16_64 3
		.amdhsa_dx10_clamp 1
		.amdhsa_ieee_mode 1
		.amdhsa_fp16_overflow 0
		.amdhsa_tg_split 0
		.amdhsa_exception_fp_ieee_invalid_op 0
		.amdhsa_exception_fp_denorm_src 0
		.amdhsa_exception_fp_ieee_div_zero 0
		.amdhsa_exception_fp_ieee_overflow 0
		.amdhsa_exception_fp_ieee_underflow 0
		.amdhsa_exception_fp_ieee_inexact 0
		.amdhsa_exception_int_div_zero 0
	.end_amdhsa_kernel
	.section	.text._ZN9rocsparseL32gtsv_interleaved_batch_qr_kernelILj128EfEEviiiPKT0_PS1_S4_S4_S4_,"axG",@progbits,_ZN9rocsparseL32gtsv_interleaved_batch_qr_kernelILj128EfEEviiiPKT0_PS1_S4_S4_S4_,comdat
.Lfunc_end2:
	.size	_ZN9rocsparseL32gtsv_interleaved_batch_qr_kernelILj128EfEEviiiPKT0_PS1_S4_S4_S4_, .Lfunc_end2-_ZN9rocsparseL32gtsv_interleaved_batch_qr_kernelILj128EfEEviiiPKT0_PS1_S4_S4_S4_
                                        ; -- End function
	.set _ZN9rocsparseL32gtsv_interleaved_batch_qr_kernelILj128EfEEviiiPKT0_PS1_S4_S4_S4_.num_vgpr, 37
	.set _ZN9rocsparseL32gtsv_interleaved_batch_qr_kernelILj128EfEEviiiPKT0_PS1_S4_S4_S4_.num_agpr, 0
	.set _ZN9rocsparseL32gtsv_interleaved_batch_qr_kernelILj128EfEEviiiPKT0_PS1_S4_S4_S4_.numbered_sgpr, 19
	.set _ZN9rocsparseL32gtsv_interleaved_batch_qr_kernelILj128EfEEviiiPKT0_PS1_S4_S4_S4_.num_named_barrier, 0
	.set _ZN9rocsparseL32gtsv_interleaved_batch_qr_kernelILj128EfEEviiiPKT0_PS1_S4_S4_S4_.private_seg_size, 0
	.set _ZN9rocsparseL32gtsv_interleaved_batch_qr_kernelILj128EfEEviiiPKT0_PS1_S4_S4_S4_.uses_vcc, 1
	.set _ZN9rocsparseL32gtsv_interleaved_batch_qr_kernelILj128EfEEviiiPKT0_PS1_S4_S4_S4_.uses_flat_scratch, 0
	.set _ZN9rocsparseL32gtsv_interleaved_batch_qr_kernelILj128EfEEviiiPKT0_PS1_S4_S4_S4_.has_dyn_sized_stack, 0
	.set _ZN9rocsparseL32gtsv_interleaved_batch_qr_kernelILj128EfEEviiiPKT0_PS1_S4_S4_S4_.has_recursion, 0
	.set _ZN9rocsparseL32gtsv_interleaved_batch_qr_kernelILj128EfEEviiiPKT0_PS1_S4_S4_S4_.has_indirect_call, 0
	.section	.AMDGPU.csdata,"",@progbits
; Kernel info:
; codeLenInByte = 1312
; TotalNumSgprs: 25
; NumVgprs: 37
; NumAgprs: 0
; TotalNumVgprs: 37
; ScratchSize: 0
; MemoryBound: 0
; FloatMode: 240
; IeeeMode: 1
; LDSByteSize: 0 bytes/workgroup (compile time only)
; SGPRBlocks: 3
; VGPRBlocks: 4
; NumSGPRsForWavesPerEU: 25
; NumVGPRsForWavesPerEU: 37
; AccumOffset: 40
; Occupancy: 8
; WaveLimiterHint : 0
; COMPUTE_PGM_RSRC2:SCRATCH_EN: 0
; COMPUTE_PGM_RSRC2:USER_SGPR: 2
; COMPUTE_PGM_RSRC2:TRAP_HANDLER: 0
; COMPUTE_PGM_RSRC2:TGID_X_EN: 1
; COMPUTE_PGM_RSRC2:TGID_Y_EN: 0
; COMPUTE_PGM_RSRC2:TGID_Z_EN: 0
; COMPUTE_PGM_RSRC2:TIDIG_COMP_CNT: 0
; COMPUTE_PGM_RSRC3_GFX90A:ACCUM_OFFSET: 9
; COMPUTE_PGM_RSRC3_GFX90A:TG_SPLIT: 0
	.section	.text._ZN9rocsparseL36gtsv_interleaved_batch_thomas_kernelILj128EdEEviiiPKT0_S3_S3_PS1_S4_S4_,"axG",@progbits,_ZN9rocsparseL36gtsv_interleaved_batch_thomas_kernelILj128EdEEviiiPKT0_S3_S3_PS1_S4_S4_,comdat
	.globl	_ZN9rocsparseL36gtsv_interleaved_batch_thomas_kernelILj128EdEEviiiPKT0_S3_S3_PS1_S4_S4_ ; -- Begin function _ZN9rocsparseL36gtsv_interleaved_batch_thomas_kernelILj128EdEEviiiPKT0_S3_S3_PS1_S4_S4_
	.p2align	8
	.type	_ZN9rocsparseL36gtsv_interleaved_batch_thomas_kernelILj128EdEEviiiPKT0_S3_S3_PS1_S4_S4_,@function
_ZN9rocsparseL36gtsv_interleaved_batch_thomas_kernelILj128EdEEviiiPKT0_S3_S3_PS1_S4_S4_: ; @_ZN9rocsparseL36gtsv_interleaved_batch_thomas_kernelILj128EdEEviiiPKT0_S3_S3_PS1_S4_S4_
; %bb.0:
	s_load_dwordx4 s[16:19], s[0:1], 0x0
	s_lshl_b32 s22, s2, 7
	v_or_b32_e32 v2, s22, v0
	s_waitcnt lgkmcnt(0)
	v_cmp_gt_i32_e32 vcc, s17, v2
	s_and_saveexec_b64 s[2:3], vcc
	s_cbranch_execz .LBB3_9
; %bb.1:
	s_load_dwordx8 s[8:15], s[0:1], 0x18
	s_load_dwordx2 s[6:7], s[0:1], 0x38
	v_ashrrev_i32_e32 v3, 31, v2
	v_lshlrev_b64 v[10:11], 3, v[2:3]
	s_cmp_gt_i32 s16, 1
	s_waitcnt lgkmcnt(0)
	v_lshl_add_u64 v[2:3], s[10:11], 0, v[10:11]
	v_lshl_add_u64 v[4:5], s[8:9], 0, v[10:11]
	global_load_dwordx2 v[8:9], v[2:3], off
	global_load_dwordx2 v[12:13], v[4:5], off
	v_lshl_add_u64 v[2:3], s[6:7], 0, v[10:11]
	global_load_dwordx2 v[14:15], v[2:3], off
	s_cselect_b64 s[20:21], -1, 0
	s_and_b64 s[2:3], exec, s[20:21]
	v_lshl_add_u64 v[4:5], s[12:13], 0, v[10:11]
	v_lshl_add_u64 v[6:7], s[14:15], 0, v[10:11]
	s_waitcnt vmcnt(1)
	v_div_scale_f64 v[16:17], s[4:5], v[12:13], v[12:13], v[8:9]
	s_waitcnt vmcnt(0)
	v_div_scale_f64 v[20:21], s[4:5], v[12:13], v[12:13], v[14:15]
	v_rcp_f64_e32 v[22:23], v[16:17]
	v_rcp_f64_e32 v[24:25], v[20:21]
	v_div_scale_f64 v[18:19], vcc, v[8:9], v[12:13], v[8:9]
	v_fma_f64 v[28:29], -v[16:17], v[22:23], 1.0
	v_fma_f64 v[30:31], -v[20:21], v[24:25], 1.0
	v_fmac_f64_e32 v[22:23], v[22:23], v[28:29]
	v_fmac_f64_e32 v[24:25], v[24:25], v[30:31]
	v_fma_f64 v[28:29], -v[16:17], v[22:23], 1.0
	v_fma_f64 v[30:31], -v[20:21], v[24:25], 1.0
	v_fmac_f64_e32 v[22:23], v[22:23], v[28:29]
	v_div_scale_f64 v[26:27], s[4:5], v[14:15], v[12:13], v[14:15]
	v_fmac_f64_e32 v[24:25], v[24:25], v[30:31]
	v_mul_f64 v[28:29], v[18:19], v[22:23]
	v_mul_f64 v[30:31], v[26:27], v[24:25]
	v_fma_f64 v[16:17], -v[16:17], v[28:29], v[18:19]
	v_fma_f64 v[18:19], -v[20:21], v[30:31], v[26:27]
	v_div_fmas_f64 v[16:17], v[16:17], v[22:23], v[28:29]
	s_mov_b64 vcc, s[4:5]
	v_div_fixup_f64 v[8:9], v[16:17], v[12:13], v[8:9]
	v_div_fmas_f64 v[16:17], v[18:19], v[24:25], v[30:31]
	global_store_dwordx2 v[4:5], v[8:9], off
	v_div_fixup_f64 v[8:9], v[16:17], v[12:13], v[14:15]
	s_mov_b64 vcc, s[2:3]
	global_store_dwordx2 v[6:7], v[8:9], off
	s_cbranch_vccnz .LBB3_3
; %bb.2:
	s_add_i32 s24, s16, -1
	s_cbranch_execz .LBB3_4
	s_branch .LBB3_6
.LBB3_3:
                                        ; implicit-def: $sgpr24
.LBB3_4:
	s_load_dwordx2 s[0:1], s[0:1], 0x10
	s_ashr_i32 s19, s18, 31
	s_ashr_i32 s5, s17, 31
	s_mov_b32 s4, s17
	s_add_i32 s24, s16, -1
	s_lshl_b64 s[2:3], s[18:19], 3
	s_add_i32 s22, s22, s18
	s_lshl_b64 s[4:5], s[4:5], 3
	v_lshl_add_u64 v[8:9], s[2:3], 0, v[10:11]
	v_add_u32_e32 v0, s22, v0
	v_lshl_add_u64 v[10:11], s[4:5], 0, v[10:11]
	s_mov_b32 s22, 0
	s_mov_b32 s19, s24
.LBB3_5:                                ; =>This Inner Loop Header: Depth=1
	v_ashrrev_i32_e32 v1, 31, v0
	s_ashr_i32 s23, s22, 31
	v_lshl_add_u64 v[14:15], s[8:9], 0, v[8:9]
	s_waitcnt lgkmcnt(0)
	v_lshl_add_u64 v[16:17], v[0:1], 3, s[0:1]
	s_lshl_b64 s[26:27], s[22:23], 3
	global_load_dwordx2 v[14:15], v[14:15], off
	v_lshl_add_u64 v[18:19], v[4:5], 0, s[26:27]
	global_load_dwordx2 v[16:17], v[16:17], off
	v_lshl_add_u64 v[12:13], s[10:11], 0, v[8:9]
	global_load_dwordx2 v[20:21], v[18:19], off
	global_load_dwordx2 v[22:23], v[12:13], off
	v_lshl_add_u64 v[26:27], v[6:7], 0, s[26:27]
	v_lshl_add_u64 v[24:25], s[12:13], 0, v[10:11]
	;; [unrolled: 1-line block ×3, first 2 shown]
	global_load_dwordx2 v[12:13], v[12:13], off
	s_add_i32 s19, s19, -1
	global_load_dwordx2 v[26:27], v[26:27], off
	s_add_i32 s22, s22, s17
	v_lshl_add_u64 v[8:9], v[8:9], 0, s[2:3]
	v_add_u32_e32 v0, s18, v0
	s_cmp_eq_u32 s19, 0
	s_waitcnt vmcnt(3)
	v_fma_f64 v[20:21], -v[16:17], v[20:21], v[14:15]
	s_waitcnt vmcnt(2)
	v_div_scale_f64 v[28:29], s[26:27], v[20:21], v[20:21], v[22:23]
	v_rcp_f64_e32 v[32:33], v[28:29]
	v_div_scale_f64 v[30:31], vcc, v[22:23], v[20:21], v[22:23]
	v_fma_f64 v[34:35], -v[28:29], v[32:33], 1.0
	v_fmac_f64_e32 v[32:33], v[32:33], v[34:35]
	v_fma_f64 v[34:35], -v[28:29], v[32:33], 1.0
	v_fmac_f64_e32 v[32:33], v[32:33], v[34:35]
	v_mul_f64 v[34:35], v[30:31], v[32:33]
	v_fma_f64 v[28:29], -v[28:29], v[34:35], v[30:31]
	v_div_fmas_f64 v[28:29], v[28:29], v[32:33], v[34:35]
	v_div_fixup_f64 v[20:21], v[28:29], v[20:21], v[22:23]
	global_store_dwordx2 v[24:25], v[20:21], off
	global_load_dwordx2 v[18:19], v[18:19], off
	s_waitcnt vmcnt(2)
	v_fma_f64 v[12:13], -v[16:17], v[26:27], v[12:13]
	v_lshl_add_u64 v[20:21], s[14:15], 0, v[10:11]
	v_lshl_add_u64 v[10:11], v[10:11], 0, s[4:5]
	s_waitcnt vmcnt(0)
	v_fma_f64 v[14:15], -v[16:17], v[18:19], v[14:15]
	v_div_scale_f64 v[16:17], s[26:27], v[14:15], v[14:15], v[12:13]
	v_rcp_f64_e32 v[18:19], v[16:17]
	v_div_scale_f64 v[22:23], vcc, v[12:13], v[14:15], v[12:13]
	v_fma_f64 v[24:25], -v[16:17], v[18:19], 1.0
	v_fmac_f64_e32 v[18:19], v[18:19], v[24:25]
	v_fma_f64 v[24:25], -v[16:17], v[18:19], 1.0
	v_fmac_f64_e32 v[18:19], v[18:19], v[24:25]
	v_mul_f64 v[24:25], v[22:23], v[18:19]
	v_fma_f64 v[16:17], -v[16:17], v[24:25], v[22:23]
	v_div_fmas_f64 v[16:17], v[16:17], v[18:19], v[24:25]
	v_div_fixup_f64 v[12:13], v[16:17], v[14:15], v[12:13]
	global_store_dwordx2 v[20:21], v[12:13], off
	s_cbranch_scc0 .LBB3_5
.LBB3_6:
	s_mul_i32 s0, s17, s24
	s_ashr_i32 s1, s0, 31
	v_lshl_add_u64 v[0:1], s[0:1], 3, v[6:7]
	global_load_dwordx2 v[0:1], v[0:1], off
	s_mul_i32 s0, s18, s24
	s_ashr_i32 s1, s0, 31
	v_lshl_add_u64 v[8:9], s[0:1], 3, v[2:3]
	s_andn2_b64 vcc, exec, s[20:21]
	s_waitcnt vmcnt(0)
	global_store_dwordx2 v[8:9], v[0:1], off
	s_cbranch_vccnz .LBB3_9
; %bb.7:
	s_add_i32 s2, s16, -2
	s_mul_i32 s1, s18, s2
	s_mul_i32 s2, s17, s2
	s_mov_b32 s4, 0
.LBB3_8:                                ; =>This Inner Loop Header: Depth=1
	s_ashr_i32 s3, s2, 31
	s_add_i32 s6, s0, s4
	s_lshl_b64 s[8:9], s[2:3], 3
	s_ashr_i32 s7, s6, 31
	v_lshl_add_u64 v[0:1], v[6:7], 0, s[8:9]
	v_lshl_add_u64 v[8:9], v[4:5], 0, s[8:9]
	;; [unrolled: 1-line block ×3, first 2 shown]
	global_load_dwordx2 v[12:13], v[0:1], off
	global_load_dwordx2 v[14:15], v[8:9], off
	;; [unrolled: 1-line block ×3, first 2 shown]
	s_add_i32 s6, s1, s4
	s_add_i32 s24, s24, -1
	s_sub_i32 s4, s4, s18
	s_ashr_i32 s7, s6, 31
	s_sub_i32 s2, s2, s17
	v_lshl_add_u64 v[0:1], s[6:7], 3, v[2:3]
	s_cmp_lg_u32 s24, 0
	s_waitcnt vmcnt(0)
	v_fma_f64 v[8:9], -v[14:15], v[16:17], v[12:13]
	global_store_dwordx2 v[0:1], v[8:9], off
	s_cbranch_scc1 .LBB3_8
.LBB3_9:
	s_endpgm
	.section	.rodata,"a",@progbits
	.p2align	6, 0x0
	.amdhsa_kernel _ZN9rocsparseL36gtsv_interleaved_batch_thomas_kernelILj128EdEEviiiPKT0_S3_S3_PS1_S4_S4_
		.amdhsa_group_segment_fixed_size 0
		.amdhsa_private_segment_fixed_size 0
		.amdhsa_kernarg_size 64
		.amdhsa_user_sgpr_count 2
		.amdhsa_user_sgpr_dispatch_ptr 0
		.amdhsa_user_sgpr_queue_ptr 0
		.amdhsa_user_sgpr_kernarg_segment_ptr 1
		.amdhsa_user_sgpr_dispatch_id 0
		.amdhsa_user_sgpr_kernarg_preload_length 0
		.amdhsa_user_sgpr_kernarg_preload_offset 0
		.amdhsa_user_sgpr_private_segment_size 0
		.amdhsa_uses_dynamic_stack 0
		.amdhsa_enable_private_segment 0
		.amdhsa_system_sgpr_workgroup_id_x 1
		.amdhsa_system_sgpr_workgroup_id_y 0
		.amdhsa_system_sgpr_workgroup_id_z 0
		.amdhsa_system_sgpr_workgroup_info 0
		.amdhsa_system_vgpr_workitem_id 0
		.amdhsa_next_free_vgpr 36
		.amdhsa_next_free_sgpr 28
		.amdhsa_accum_offset 36
		.amdhsa_reserve_vcc 1
		.amdhsa_float_round_mode_32 0
		.amdhsa_float_round_mode_16_64 0
		.amdhsa_float_denorm_mode_32 3
		.amdhsa_float_denorm_mode_16_64 3
		.amdhsa_dx10_clamp 1
		.amdhsa_ieee_mode 1
		.amdhsa_fp16_overflow 0
		.amdhsa_tg_split 0
		.amdhsa_exception_fp_ieee_invalid_op 0
		.amdhsa_exception_fp_denorm_src 0
		.amdhsa_exception_fp_ieee_div_zero 0
		.amdhsa_exception_fp_ieee_overflow 0
		.amdhsa_exception_fp_ieee_underflow 0
		.amdhsa_exception_fp_ieee_inexact 0
		.amdhsa_exception_int_div_zero 0
	.end_amdhsa_kernel
	.section	.text._ZN9rocsparseL36gtsv_interleaved_batch_thomas_kernelILj128EdEEviiiPKT0_S3_S3_PS1_S4_S4_,"axG",@progbits,_ZN9rocsparseL36gtsv_interleaved_batch_thomas_kernelILj128EdEEviiiPKT0_S3_S3_PS1_S4_S4_,comdat
.Lfunc_end3:
	.size	_ZN9rocsparseL36gtsv_interleaved_batch_thomas_kernelILj128EdEEviiiPKT0_S3_S3_PS1_S4_S4_, .Lfunc_end3-_ZN9rocsparseL36gtsv_interleaved_batch_thomas_kernelILj128EdEEviiiPKT0_S3_S3_PS1_S4_S4_
                                        ; -- End function
	.set _ZN9rocsparseL36gtsv_interleaved_batch_thomas_kernelILj128EdEEviiiPKT0_S3_S3_PS1_S4_S4_.num_vgpr, 36
	.set _ZN9rocsparseL36gtsv_interleaved_batch_thomas_kernelILj128EdEEviiiPKT0_S3_S3_PS1_S4_S4_.num_agpr, 0
	.set _ZN9rocsparseL36gtsv_interleaved_batch_thomas_kernelILj128EdEEviiiPKT0_S3_S3_PS1_S4_S4_.numbered_sgpr, 28
	.set _ZN9rocsparseL36gtsv_interleaved_batch_thomas_kernelILj128EdEEviiiPKT0_S3_S3_PS1_S4_S4_.num_named_barrier, 0
	.set _ZN9rocsparseL36gtsv_interleaved_batch_thomas_kernelILj128EdEEviiiPKT0_S3_S3_PS1_S4_S4_.private_seg_size, 0
	.set _ZN9rocsparseL36gtsv_interleaved_batch_thomas_kernelILj128EdEEviiiPKT0_S3_S3_PS1_S4_S4_.uses_vcc, 1
	.set _ZN9rocsparseL36gtsv_interleaved_batch_thomas_kernelILj128EdEEviiiPKT0_S3_S3_PS1_S4_S4_.uses_flat_scratch, 0
	.set _ZN9rocsparseL36gtsv_interleaved_batch_thomas_kernelILj128EdEEviiiPKT0_S3_S3_PS1_S4_S4_.has_dyn_sized_stack, 0
	.set _ZN9rocsparseL36gtsv_interleaved_batch_thomas_kernelILj128EdEEviiiPKT0_S3_S3_PS1_S4_S4_.has_recursion, 0
	.set _ZN9rocsparseL36gtsv_interleaved_batch_thomas_kernelILj128EdEEviiiPKT0_S3_S3_PS1_S4_S4_.has_indirect_call, 0
	.section	.AMDGPU.csdata,"",@progbits
; Kernel info:
; codeLenInByte = 984
; TotalNumSgprs: 34
; NumVgprs: 36
; NumAgprs: 0
; TotalNumVgprs: 36
; ScratchSize: 0
; MemoryBound: 0
; FloatMode: 240
; IeeeMode: 1
; LDSByteSize: 0 bytes/workgroup (compile time only)
; SGPRBlocks: 4
; VGPRBlocks: 4
; NumSGPRsForWavesPerEU: 34
; NumVGPRsForWavesPerEU: 36
; AccumOffset: 36
; Occupancy: 8
; WaveLimiterHint : 0
; COMPUTE_PGM_RSRC2:SCRATCH_EN: 0
; COMPUTE_PGM_RSRC2:USER_SGPR: 2
; COMPUTE_PGM_RSRC2:TRAP_HANDLER: 0
; COMPUTE_PGM_RSRC2:TGID_X_EN: 1
; COMPUTE_PGM_RSRC2:TGID_Y_EN: 0
; COMPUTE_PGM_RSRC2:TGID_Z_EN: 0
; COMPUTE_PGM_RSRC2:TIDIG_COMP_CNT: 0
; COMPUTE_PGM_RSRC3_GFX90A:ACCUM_OFFSET: 8
; COMPUTE_PGM_RSRC3_GFX90A:TG_SPLIT: 0
	.section	.text._ZN9rocsparseL32gtsv_interleaved_batch_lu_kernelILj128EdEEviiiPT0_S2_S2_S2_PiS2_,"axG",@progbits,_ZN9rocsparseL32gtsv_interleaved_batch_lu_kernelILj128EdEEviiiPT0_S2_S2_S2_PiS2_,comdat
	.globl	_ZN9rocsparseL32gtsv_interleaved_batch_lu_kernelILj128EdEEviiiPT0_S2_S2_S2_PiS2_ ; -- Begin function _ZN9rocsparseL32gtsv_interleaved_batch_lu_kernelILj128EdEEviiiPT0_S2_S2_S2_PiS2_
	.p2align	8
	.type	_ZN9rocsparseL32gtsv_interleaved_batch_lu_kernelILj128EdEEviiiPT0_S2_S2_S2_PiS2_,@function
_ZN9rocsparseL32gtsv_interleaved_batch_lu_kernelILj128EdEEviiiPT0_S2_S2_S2_PiS2_: ; @_ZN9rocsparseL32gtsv_interleaved_batch_lu_kernelILj128EdEEviiiPT0_S2_S2_S2_PiS2_
; %bb.0:
	s_load_dwordx4 s[12:15], s[0:1], 0x0
	s_waitcnt lgkmcnt(0)
	s_lshl_b32 s15, s2, 7
	v_or_b32_e32 v2, s15, v0
	v_cmp_gt_i32_e32 vcc, s13, v2
	s_and_saveexec_b64 s[2:3], vcc
	s_cbranch_execz .LBB4_19
; %bb.1:
	s_load_dwordx8 s[4:11], s[0:1], 0x18
	s_load_dwordx2 s[2:3], s[0:1], 0x38
	v_ashrrev_i32_e32 v3, 31, v2
	s_add_i32 s20, s12, -1
	v_mov_b32_e32 v1, 0
	s_waitcnt lgkmcnt(0)
	v_lshl_add_u64 v[4:5], v[2:3], 2, s[10:11]
	s_cmp_lt_i32 s12, 2
	global_store_dword v[4:5], v1, off
	s_cbranch_scc1 .LBB4_16
; %bb.2:
	s_load_dwordx2 s[0:1], s[0:1], 0x10
	s_mov_b32 s21, 0
	s_branch .LBB4_4
.LBB4_3:                                ;   in Loop: Header=BB4_4 Depth=1
	s_or_b64 exec, exec, s[18:19]
	s_cmp_lg_u32 s21, s20
	s_cbranch_scc0 .LBB4_8
.LBB4_4:                                ; =>This Inner Loop Header: Depth=1
	s_mul_i32 s17, s21, s14
	v_add_u32_e32 v20, s17, v2
	v_add_u32_e32 v8, s14, v20
	v_ashrrev_i32_e32 v21, 31, v20
	v_ashrrev_i32_e32 v9, 31, v8
	v_lshl_add_u64 v[18:19], v[20:21], 3, s[4:5]
	s_waitcnt lgkmcnt(0)
	v_lshl_add_u64 v[6:7], v[8:9], 3, s[0:1]
	global_load_dwordx2 v[14:15], v[18:19], off
	global_load_dwordx2 v[12:13], v[6:7], off
	s_mov_b32 s16, s21
	s_mul_i32 s16, s16, s13
	v_lshlrev_b64 v[22:23], 3, v[8:9]
	s_add_i32 s21, s21, 1
	v_lshl_add_u64 v[10:11], s[4:5], 0, v[22:23]
	v_lshl_add_u64 v[8:9], s[6:7], 0, v[22:23]
	v_add_u32_e32 v16, s16, v2
	s_waitcnt vmcnt(0)
	v_cmp_nlt_f64_e64 s[18:19], |v[14:15]|, |v[12:13]|
	s_and_saveexec_b64 s[22:23], s[18:19]
	s_xor_b64 s[18:19], exec, s[22:23]
	s_cbranch_execnz .LBB4_6
; %bb.5:                                ;   in Loop: Header=BB4_4 Depth=1
	s_andn2_saveexec_b64 s[18:19], s[18:19]
	s_cbranch_execz .LBB4_3
	s_branch .LBB4_7
.LBB4_6:                                ;   in Loop: Header=BB4_4 Depth=1
	v_ashrrev_i32_e32 v17, 31, v16
	global_load_dwordx2 v[18:19], v[10:11], off
	v_lshl_add_u64 v[20:21], v[20:21], 3, s[6:7]
	v_lshl_add_u64 v[16:17], v[16:17], 3, s[8:9]
	global_load_dwordx2 v[22:23], v[20:21], off
	global_load_dwordx2 v[24:25], v[8:9], off
	v_div_scale_f64 v[20:21], s[24:25], v[14:15], v[14:15], v[12:13]
	global_load_dwordx2 v[16:17], v[16:17], off
	v_rcp_f64_e32 v[28:29], v[20:21]
	s_mul_i32 s22, s21, s13
	s_ashr_i32 s23, s22, 31
	v_mov_b32_e32 v1, s21
	v_lshl_add_u64 v[30:31], s[22:23], 2, v[4:5]
	global_store_dword v[30:31], v1, off
	v_fma_f64 v[30:31], -v[20:21], v[28:29], 1.0
	v_fmac_f64_e32 v[28:29], v[28:29], v[30:31]
	v_fma_f64 v[30:31], -v[20:21], v[28:29], 1.0
	v_div_scale_f64 v[26:27], vcc, v[12:13], v[14:15], v[12:13]
	v_fmac_f64_e32 v[28:29], v[28:29], v[30:31]
	v_mul_f64 v[30:31], v[26:27], v[28:29]
	v_fma_f64 v[20:21], -v[20:21], v[30:31], v[26:27]
	s_nop 0
	v_div_fmas_f64 v[20:21], v[20:21], v[28:29], v[30:31]
	v_div_fixup_f64 v[12:13], v[20:21], v[14:15], v[12:13]
	global_store_dwordx2 v[6:7], v[12:13], off
                                        ; implicit-def: $vgpr14_vgpr15
                                        ; implicit-def: $vgpr20_vgpr21
	s_waitcnt vmcnt(4)
	v_fma_f64 v[6:7], -v[12:13], v[22:23], v[18:19]
	global_store_dwordx2 v[10:11], v[6:7], off
                                        ; implicit-def: $vgpr18_vgpr19
                                        ; implicit-def: $vgpr22_vgpr23
                                        ; implicit-def: $vgpr10_vgpr11
	s_waitcnt vmcnt(3)
	v_fma_f64 v[6:7], -v[12:13], v[16:17], v[24:25]
	global_store_dwordx2 v[8:9], v[6:7], off
                                        ; implicit-def: $vgpr6_vgpr7
                                        ; implicit-def: $vgpr12_vgpr13
                                        ; implicit-def: $vgpr8_vgpr9
                                        ; implicit-def: $vgpr16
	s_andn2_saveexec_b64 s[18:19], s[18:19]
	s_cbranch_execz .LBB4_3
.LBB4_7:                                ;   in Loop: Header=BB4_4 Depth=1
	v_ashrrev_i32_e32 v17, 31, v16
	global_load_dwordx2 v[24:25], v[10:11], off
	v_lshl_add_u64 v[26:27], v[16:17], 3, s[8:9]
	global_load_dwordx2 v[28:29], v[26:27], off
	v_lshlrev_b64 v[20:21], 3, v[20:21]
	s_ashr_i32 s17, s16, 31
	v_lshl_add_u64 v[32:33], s[6:7], 0, v[20:21]
	global_load_dwordx2 v[30:31], v[8:9], off
	v_lshl_add_u64 v[22:23], s[2:3], 0, v[22:23]
	v_lshl_add_u64 v[34:35], s[16:17], 2, v[4:5]
	;; [unrolled: 1-line block ×3, first 2 shown]
	global_load_dwordx2 v[36:37], v[32:33], off
	global_load_dword v1, v[34:35], off
	global_load_dwordx2 v[38:39], v[20:21], off
	global_load_dwordx2 v[40:41], v[22:23], off
	v_mov_b32_e32 v3, s21
	v_add_u32_e32 v16, s13, v16
	v_ashrrev_i32_e32 v17, 31, v16
	v_lshl_add_u64 v[16:17], v[16:17], 2, s[10:11]
	s_waitcnt vmcnt(6)
	global_store_dwordx2 v[32:33], v[24:25], off
	s_waitcnt vmcnt(6)
	global_store_dwordx2 v[8:9], v[28:29], off
	global_load_dwordx2 v[24:25], v[32:33], off
	v_div_scale_f64 v[32:33], vcc, v[14:15], v[12:13], v[14:15]
	global_store_dwordx2 v[18:19], v[12:13], off
	v_div_scale_f64 v[18:19], s[16:17], v[12:13], v[12:13], v[14:15]
	v_rcp_f64_e32 v[42:43], v[18:19]
	global_store_dword v[34:35], v3, off
	v_fma_f64 v[34:35], -v[18:19], v[42:43], 1.0
	v_fmac_f64_e32 v[42:43], v[42:43], v[34:35]
	v_fma_f64 v[34:35], -v[18:19], v[42:43], 1.0
	v_fmac_f64_e32 v[42:43], v[42:43], v[34:35]
	v_mul_f64 v[34:35], v[32:33], v[42:43]
	v_fma_f64 v[18:19], -v[18:19], v[34:35], v[32:33]
	v_div_fmas_f64 v[18:19], v[18:19], v[42:43], v[34:35]
	v_div_fixup_f64 v[12:13], v[18:19], v[12:13], v[14:15]
	global_store_dwordx2 v[6:7], v[12:13], off
	s_waitcnt vmcnt(10)
	global_store_dwordx2 v[26:27], v[30:31], off
	s_waitcnt vmcnt(9)
	global_store_dword v[16:17], v1, off
	s_waitcnt vmcnt(8)
	global_store_dwordx2 v[20:21], v[40:41], off
	global_store_dwordx2 v[22:23], v[38:39], off
	v_fma_f64 v[6:7], -v[12:13], v[30:31], v[28:29]
	s_waitcnt vmcnt(7)
	v_fma_f64 v[12:13], -v[12:13], v[24:25], v[36:37]
	global_store_dwordx2 v[10:11], v[12:13], off
	global_store_dwordx2 v[8:9], v[6:7], off
	s_branch .LBB4_3
.LBB4_8:
	s_mov_b32 s21, 1
	v_mov_b32_e32 v1, 0
	s_branch .LBB4_11
.LBB4_9:                                ;   in Loop: Header=BB4_11 Depth=1
	s_or_b64 exec, exec, s[16:17]
	s_mul_i32 s16, s21, s14
	v_add_u32_e32 v8, s16, v2
	v_ashrrev_i32_e32 v9, 31, v8
	v_lshl_add_u64 v[8:9], v[8:9], 3, s[2:3]
	global_load_dwordx2 v[10:11], v[8:9], off
	v_mov_b32_e32 v1, s21
	s_waitcnt vmcnt(0)
	v_add_f64 v[6:7], v[6:7], v[10:11]
	global_store_dwordx2 v[8:9], v[6:7], off
.LBB4_10:                               ;   in Loop: Header=BB4_11 Depth=1
	s_or_b64 exec, exec, s[10:11]
	s_add_i32 s21, s21, 1
	s_cmp_eq_u32 s21, s12
	s_cbranch_scc1 .LBB4_16
.LBB4_11:                               ; =>This Loop Header: Depth=1
                                        ;     Child Loop BB4_14 Depth 2
	s_mul_i32 s10, s21, s13
	s_ashr_i32 s11, s10, 31
	v_lshl_add_u64 v[6:7], s[10:11], 2, v[4:5]
	global_load_dword v3, v[6:7], off
	s_waitcnt vmcnt(0)
	v_cmp_ge_i32_e32 vcc, s21, v3
	s_and_saveexec_b64 s[10:11], vcc
	s_cbranch_execz .LBB4_10
; %bb.12:                               ;   in Loop: Header=BB4_11 Depth=1
	v_cmp_gt_u32_e32 vcc, s21, v1
	v_mov_b64_e32 v[6:7], 0
	s_and_saveexec_b64 s[16:17], vcc
	s_cbranch_execz .LBB4_9
; %bb.13:                               ;   in Loop: Header=BB4_11 Depth=1
	v_mul_lo_u32 v3, s14, v1
	v_add_u32_e32 v8, s14, v3
	v_mov_b64_e32 v[6:7], 0
	s_mov_b64 s[18:19], 0
	v_mov_b32_e32 v9, v2
.LBB4_14:                               ;   Parent Loop BB4_11 Depth=1
                                        ; =>  This Inner Loop Header: Depth=2
	v_add_u32_e32 v10, v8, v9
	v_add_u32_e32 v12, v3, v9
	v_ashrrev_i32_e32 v11, 31, v10
	v_ashrrev_i32_e32 v13, 31, v12
	v_lshl_add_u64 v[10:11], v[10:11], 3, s[0:1]
	v_lshl_add_u64 v[12:13], v[12:13], 3, s[2:3]
	global_load_dwordx2 v[14:15], v[10:11], off
	global_load_dwordx2 v[16:17], v[12:13], off
	v_add_u32_e32 v1, 1, v1
	v_cmp_le_u32_e32 vcc, s21, v1
	v_add_u32_e32 v9, s14, v9
	s_or_b64 s[18:19], vcc, s[18:19]
	s_waitcnt vmcnt(0)
	v_fma_f64 v[6:7], -v[14:15], v[16:17], v[6:7]
	s_andn2_b64 exec, exec, s[18:19]
	s_cbranch_execnz .LBB4_14
; %bb.15:                               ;   in Loop: Header=BB4_11 Depth=1
	s_or_b64 exec, exec, s[18:19]
	s_branch .LBB4_9
.LBB4_16:
	s_mul_i32 s0, s14, s20
	v_add_u32_e32 v4, s0, v2
	v_ashrrev_i32_e32 v5, 31, v4
	v_lshlrev_b64 v[4:5], 3, v[4:5]
	v_lshl_add_u64 v[6:7], s[2:3], 0, v[4:5]
	v_lshl_add_u64 v[4:5], s[4:5], 0, v[4:5]
	global_load_dwordx2 v[8:9], v[6:7], off
	s_sub_i32 s1, s0, s14
	global_load_dwordx2 v[4:5], v[4:5], off
	v_add_u32_e32 v10, s1, v2
	v_ashrrev_i32_e32 v11, 31, v10
	v_lshlrev_b64 v[10:11], 3, v[10:11]
	v_lshl_add_u64 v[12:13], s[2:3], 0, v[10:11]
	v_lshl_add_u64 v[14:15], s[6:7], 0, v[10:11]
	global_load_dwordx2 v[14:15], v[14:15], off
	s_cmp_lt_i32 s12, 3
	s_waitcnt vmcnt(1)
	v_div_scale_f64 v[16:17], s[10:11], v[4:5], v[4:5], v[8:9]
	v_rcp_f64_e32 v[18:19], v[16:17]
	v_div_scale_f64 v[20:21], vcc, v[8:9], v[4:5], v[8:9]
	v_fma_f64 v[22:23], -v[16:17], v[18:19], 1.0
	v_fmac_f64_e32 v[18:19], v[18:19], v[22:23]
	v_fma_f64 v[22:23], -v[16:17], v[18:19], 1.0
	v_fmac_f64_e32 v[18:19], v[18:19], v[22:23]
	v_mul_f64 v[22:23], v[20:21], v[18:19]
	v_fma_f64 v[16:17], -v[16:17], v[22:23], v[20:21]
	v_div_fmas_f64 v[16:17], v[16:17], v[18:19], v[22:23]
	v_div_fixup_f64 v[4:5], v[16:17], v[4:5], v[8:9]
	global_store_dwordx2 v[6:7], v[4:5], off
	global_load_dwordx2 v[6:7], v[12:13], off
	v_lshl_add_u64 v[8:9], s[4:5], 0, v[10:11]
	global_load_dwordx2 v[8:9], v[8:9], off
	s_waitcnt vmcnt(1)
	v_fma_f64 v[4:5], -v[4:5], v[14:15], v[6:7]
	s_waitcnt vmcnt(0)
	v_div_scale_f64 v[6:7], s[10:11], v[8:9], v[8:9], v[4:5]
	v_rcp_f64_e32 v[10:11], v[6:7]
	v_div_scale_f64 v[14:15], vcc, v[4:5], v[8:9], v[4:5]
	v_fma_f64 v[16:17], -v[6:7], v[10:11], 1.0
	v_fmac_f64_e32 v[10:11], v[10:11], v[16:17]
	v_fma_f64 v[16:17], -v[6:7], v[10:11], 1.0
	v_fmac_f64_e32 v[10:11], v[10:11], v[16:17]
	v_mul_f64 v[16:17], v[14:15], v[10:11]
	v_fma_f64 v[6:7], -v[6:7], v[16:17], v[14:15]
	v_div_fmas_f64 v[6:7], v[6:7], v[10:11], v[16:17]
	v_div_fixup_f64 v[4:5], v[6:7], v[8:9], v[4:5]
	global_store_dwordx2 v[12:13], v[4:5], off
	s_cbranch_scc1 .LBB4_19
; %bb.17:
	s_add_i32 s11, s12, -3
	s_mul_i32 s10, s13, s11
	s_add_i32 s1, s12, -2
	s_add_i32 s15, s15, s10
	v_add_u32_e32 v0, s15, v0
	s_mul_i32 s10, s14, s1
	s_mul_i32 s11, s14, s11
.LBB4_18:                               ; =>This Inner Loop Header: Depth=1
	v_add_u32_e32 v4, s11, v2
	v_add_u32_e32 v6, s10, v2
	;; [unrolled: 1-line block ×3, first 2 shown]
	v_ashrrev_i32_e32 v5, 31, v4
	v_ashrrev_i32_e32 v1, 31, v0
	;; [unrolled: 1-line block ×4, first 2 shown]
	v_lshlrev_b64 v[4:5], 3, v[4:5]
	v_lshl_add_u64 v[10:11], v[0:1], 3, s[8:9]
	v_lshl_add_u64 v[6:7], v[6:7], 3, s[2:3]
	;; [unrolled: 1-line block ×4, first 2 shown]
	global_load_dwordx2 v[10:11], v[10:11], off
	v_lshl_add_u64 v[14:15], s[6:7], 0, v[4:5]
	global_load_dwordx2 v[16:17], v[6:7], off
	global_load_dwordx2 v[18:19], v[8:9], off
	v_lshl_add_u64 v[4:5], s[4:5], 0, v[4:5]
	global_load_dwordx2 v[6:7], v[12:13], off
	global_load_dwordx2 v[8:9], v[14:15], off
	global_load_dwordx2 v[20:21], v[4:5], off
	s_add_i32 s1, s1, -1
	v_subrev_u32_e32 v2, s14, v2
	v_subrev_u32_e32 v0, s13, v0
	s_cmp_lg_u32 s1, 0
	s_waitcnt vmcnt(1)
	v_fma_f64 v[4:5], -v[8:9], v[16:17], v[6:7]
	v_fma_f64 v[4:5], -v[10:11], v[18:19], v[4:5]
	s_waitcnt vmcnt(0)
	v_div_scale_f64 v[6:7], s[16:17], v[20:21], v[20:21], v[4:5]
	v_rcp_f64_e32 v[8:9], v[6:7]
	v_div_scale_f64 v[10:11], vcc, v[4:5], v[20:21], v[4:5]
	v_fma_f64 v[14:15], -v[6:7], v[8:9], 1.0
	v_fmac_f64_e32 v[8:9], v[8:9], v[14:15]
	v_fma_f64 v[14:15], -v[6:7], v[8:9], 1.0
	v_fmac_f64_e32 v[8:9], v[8:9], v[14:15]
	v_mul_f64 v[14:15], v[10:11], v[8:9]
	v_fma_f64 v[6:7], -v[6:7], v[14:15], v[10:11]
	v_div_fmas_f64 v[6:7], v[6:7], v[8:9], v[14:15]
	v_div_fixup_f64 v[4:5], v[6:7], v[20:21], v[4:5]
	global_store_dwordx2 v[12:13], v[4:5], off
	s_cbranch_scc1 .LBB4_18
.LBB4_19:
	s_endpgm
	.section	.rodata,"a",@progbits
	.p2align	6, 0x0
	.amdhsa_kernel _ZN9rocsparseL32gtsv_interleaved_batch_lu_kernelILj128EdEEviiiPT0_S2_S2_S2_PiS2_
		.amdhsa_group_segment_fixed_size 0
		.amdhsa_private_segment_fixed_size 0
		.amdhsa_kernarg_size 64
		.amdhsa_user_sgpr_count 2
		.amdhsa_user_sgpr_dispatch_ptr 0
		.amdhsa_user_sgpr_queue_ptr 0
		.amdhsa_user_sgpr_kernarg_segment_ptr 1
		.amdhsa_user_sgpr_dispatch_id 0
		.amdhsa_user_sgpr_kernarg_preload_length 0
		.amdhsa_user_sgpr_kernarg_preload_offset 0
		.amdhsa_user_sgpr_private_segment_size 0
		.amdhsa_uses_dynamic_stack 0
		.amdhsa_enable_private_segment 0
		.amdhsa_system_sgpr_workgroup_id_x 1
		.amdhsa_system_sgpr_workgroup_id_y 0
		.amdhsa_system_sgpr_workgroup_id_z 0
		.amdhsa_system_sgpr_workgroup_info 0
		.amdhsa_system_vgpr_workitem_id 0
		.amdhsa_next_free_vgpr 44
		.amdhsa_next_free_sgpr 26
		.amdhsa_accum_offset 44
		.amdhsa_reserve_vcc 1
		.amdhsa_float_round_mode_32 0
		.amdhsa_float_round_mode_16_64 0
		.amdhsa_float_denorm_mode_32 3
		.amdhsa_float_denorm_mode_16_64 3
		.amdhsa_dx10_clamp 1
		.amdhsa_ieee_mode 1
		.amdhsa_fp16_overflow 0
		.amdhsa_tg_split 0
		.amdhsa_exception_fp_ieee_invalid_op 0
		.amdhsa_exception_fp_denorm_src 0
		.amdhsa_exception_fp_ieee_div_zero 0
		.amdhsa_exception_fp_ieee_overflow 0
		.amdhsa_exception_fp_ieee_underflow 0
		.amdhsa_exception_fp_ieee_inexact 0
		.amdhsa_exception_int_div_zero 0
	.end_amdhsa_kernel
	.section	.text._ZN9rocsparseL32gtsv_interleaved_batch_lu_kernelILj128EdEEviiiPT0_S2_S2_S2_PiS2_,"axG",@progbits,_ZN9rocsparseL32gtsv_interleaved_batch_lu_kernelILj128EdEEviiiPT0_S2_S2_S2_PiS2_,comdat
.Lfunc_end4:
	.size	_ZN9rocsparseL32gtsv_interleaved_batch_lu_kernelILj128EdEEviiiPT0_S2_S2_S2_PiS2_, .Lfunc_end4-_ZN9rocsparseL32gtsv_interleaved_batch_lu_kernelILj128EdEEviiiPT0_S2_S2_S2_PiS2_
                                        ; -- End function
	.set _ZN9rocsparseL32gtsv_interleaved_batch_lu_kernelILj128EdEEviiiPT0_S2_S2_S2_PiS2_.num_vgpr, 44
	.set _ZN9rocsparseL32gtsv_interleaved_batch_lu_kernelILj128EdEEviiiPT0_S2_S2_S2_PiS2_.num_agpr, 0
	.set _ZN9rocsparseL32gtsv_interleaved_batch_lu_kernelILj128EdEEviiiPT0_S2_S2_S2_PiS2_.numbered_sgpr, 26
	.set _ZN9rocsparseL32gtsv_interleaved_batch_lu_kernelILj128EdEEviiiPT0_S2_S2_S2_PiS2_.num_named_barrier, 0
	.set _ZN9rocsparseL32gtsv_interleaved_batch_lu_kernelILj128EdEEviiiPT0_S2_S2_S2_PiS2_.private_seg_size, 0
	.set _ZN9rocsparseL32gtsv_interleaved_batch_lu_kernelILj128EdEEviiiPT0_S2_S2_S2_PiS2_.uses_vcc, 1
	.set _ZN9rocsparseL32gtsv_interleaved_batch_lu_kernelILj128EdEEviiiPT0_S2_S2_S2_PiS2_.uses_flat_scratch, 0
	.set _ZN9rocsparseL32gtsv_interleaved_batch_lu_kernelILj128EdEEviiiPT0_S2_S2_S2_PiS2_.has_dyn_sized_stack, 0
	.set _ZN9rocsparseL32gtsv_interleaved_batch_lu_kernelILj128EdEEviiiPT0_S2_S2_S2_PiS2_.has_recursion, 0
	.set _ZN9rocsparseL32gtsv_interleaved_batch_lu_kernelILj128EdEEviiiPT0_S2_S2_S2_PiS2_.has_indirect_call, 0
	.section	.AMDGPU.csdata,"",@progbits
; Kernel info:
; codeLenInByte = 1676
; TotalNumSgprs: 32
; NumVgprs: 44
; NumAgprs: 0
; TotalNumVgprs: 44
; ScratchSize: 0
; MemoryBound: 0
; FloatMode: 240
; IeeeMode: 1
; LDSByteSize: 0 bytes/workgroup (compile time only)
; SGPRBlocks: 3
; VGPRBlocks: 5
; NumSGPRsForWavesPerEU: 32
; NumVGPRsForWavesPerEU: 44
; AccumOffset: 44
; Occupancy: 8
; WaveLimiterHint : 0
; COMPUTE_PGM_RSRC2:SCRATCH_EN: 0
; COMPUTE_PGM_RSRC2:USER_SGPR: 2
; COMPUTE_PGM_RSRC2:TRAP_HANDLER: 0
; COMPUTE_PGM_RSRC2:TGID_X_EN: 1
; COMPUTE_PGM_RSRC2:TGID_Y_EN: 0
; COMPUTE_PGM_RSRC2:TGID_Z_EN: 0
; COMPUTE_PGM_RSRC2:TIDIG_COMP_CNT: 0
; COMPUTE_PGM_RSRC3_GFX90A:ACCUM_OFFSET: 10
; COMPUTE_PGM_RSRC3_GFX90A:TG_SPLIT: 0
	.section	.text._ZN9rocsparseL32gtsv_interleaved_batch_qr_kernelILj128EdEEviiiPKT0_PS1_S4_S4_S4_,"axG",@progbits,_ZN9rocsparseL32gtsv_interleaved_batch_qr_kernelILj128EdEEviiiPKT0_PS1_S4_S4_S4_,comdat
	.globl	_ZN9rocsparseL32gtsv_interleaved_batch_qr_kernelILj128EdEEviiiPKT0_PS1_S4_S4_S4_ ; -- Begin function _ZN9rocsparseL32gtsv_interleaved_batch_qr_kernelILj128EdEEviiiPKT0_PS1_S4_S4_S4_
	.p2align	8
	.type	_ZN9rocsparseL32gtsv_interleaved_batch_qr_kernelILj128EdEEviiiPKT0_PS1_S4_S4_S4_,@function
_ZN9rocsparseL32gtsv_interleaved_batch_qr_kernelILj128EdEEviiiPKT0_PS1_S4_S4_S4_: ; @_ZN9rocsparseL32gtsv_interleaved_batch_qr_kernelILj128EdEEviiiPKT0_PS1_S4_S4_S4_
; %bb.0:
	s_load_dwordx4 s[12:15], s[0:1], 0x0
	s_waitcnt lgkmcnt(0)
	s_lshl_b32 s15, s2, 7
	v_or_b32_e32 v2, s15, v0
	v_cmp_gt_i32_e32 vcc, s13, v2
	s_and_saveexec_b64 s[2:3], vcc
	s_cbranch_execz .LBB5_7
; %bb.1:
	s_load_dwordx8 s[4:11], s[0:1], 0x18
	s_add_i32 s18, s12, -1
	s_cmp_lt_i32 s12, 2
	s_cbranch_scc1 .LBB5_4
; %bb.2:
	v_ashrrev_i32_e32 v3, 31, v2
	v_lshlrev_b64 v[8:9], 3, v[2:3]
	s_waitcnt lgkmcnt(0)
	v_lshl_add_u64 v[4:5], s[4:5], 0, v[8:9]
	v_lshl_add_u64 v[6:7], s[6:7], 0, v[8:9]
	;; [unrolled: 1-line block ×3, first 2 shown]
	global_load_dwordx2 v[4:5], v[4:5], off
	s_load_dwordx2 s[2:3], s[0:1], 0x10
	global_load_dwordx2 v[6:7], v[6:7], off
	s_mov_b32 s16, 0
	global_load_dwordx2 v[8:9], v[8:9], off
	s_brev_b32 s17, 8
	v_mov_b32_e32 v1, 0x100
	v_mov_b32_e32 v3, 0xffffff80
	;; [unrolled: 1-line block ×4, first 2 shown]
	s_mov_b32 s19, s18
	v_mov_b32_e32 v10, v2
.LBB5_3:                                ; =>This Inner Loop Header: Depth=1
	v_add_u32_e32 v16, s14, v12
	v_ashrrev_i32_e32 v17, 31, v16
	v_lshlrev_b64 v[18:19], 3, v[16:17]
	s_waitcnt lgkmcnt(0)
	v_lshl_add_u64 v[20:21], s[2:3], 0, v[18:19]
	global_load_dwordx2 v[20:21], v[20:21], off
	v_lshl_add_u64 v[24:25], s[4:5], 0, v[18:19]
	v_lshl_add_u64 v[26:27], s[6:7], 0, v[18:19]
	;; [unrolled: 1-line block ×3, first 2 shown]
	global_load_dwordx2 v[28:29], v[24:25], off
	global_load_dwordx2 v[30:31], v[18:19], off
	global_load_dwordx2 v[32:33], v[26:27], off
	s_waitcnt vmcnt(6)
	v_mul_f64 v[22:23], v[4:5], v[4:5]
	v_ashrrev_i32_e32 v11, 31, v10
	v_lshl_add_u64 v[36:37], v[10:11], 3, s[8:9]
	v_ashrrev_i32_e32 v13, 31, v12
	s_add_i32 s19, s19, -1
	v_lshlrev_b64 v[34:35], 3, v[12:13]
	v_add_u32_e32 v10, s13, v10
	s_cmp_eq_u32 s19, 0
	v_mov_b32_e32 v12, v16
	v_lshl_add_u64 v[16:17], s[4:5], 0, v[34:35]
	v_lshl_add_u64 v[38:39], s[6:7], 0, v[34:35]
	;; [unrolled: 1-line block ×3, first 2 shown]
	s_waitcnt vmcnt(3)
	v_fmac_f64_e32 v[22:23], v[20:21], v[20:21]
	v_cmp_gt_f64_e32 vcc, s[16:17], v[22:23]
	s_nop 1
	v_cndmask_b32_e32 v11, 0, v1, vcc
	v_ldexp_f64 v[22:23], v[22:23], v11
	v_rsq_f64_e32 v[40:41], v[22:23]
	v_cndmask_b32_e32 v11, 0, v3, vcc
	v_cmp_class_f64_e32 vcc, v[22:23], v14
	v_mul_f64 v[42:43], v[22:23], v[40:41]
	v_mul_f64 v[40:41], v[40:41], 0.5
	v_fma_f64 v[44:45], -v[40:41], v[42:43], 0.5
	v_fmac_f64_e32 v[42:43], v[42:43], v[44:45]
	v_fmac_f64_e32 v[40:41], v[40:41], v[44:45]
	v_fma_f64 v[44:45], -v[42:43], v[42:43], v[22:23]
	v_fmac_f64_e32 v[42:43], v[44:45], v[40:41]
	v_fma_f64 v[44:45], -v[42:43], v[42:43], v[22:23]
	v_fmac_f64_e32 v[42:43], v[44:45], v[40:41]
	v_ldexp_f64 v[40:41], v[42:43], v11
	v_cndmask_b32_e32 v23, v41, v23, vcc
	v_cndmask_b32_e32 v22, v40, v22, vcc
	v_div_scale_f64 v[40:41], s[0:1], v[22:23], v[22:23], v[4:5]
	v_div_scale_f64 v[44:45], s[0:1], v[22:23], v[22:23], v[20:21]
	v_rcp_f64_e32 v[48:49], v[40:41]
	v_rcp_f64_e32 v[50:51], v[44:45]
	v_div_scale_f64 v[42:43], vcc, v[4:5], v[22:23], v[4:5]
	v_fma_f64 v[52:53], -v[40:41], v[48:49], 1.0
	v_fma_f64 v[54:55], -v[44:45], v[50:51], 1.0
	v_fmac_f64_e32 v[48:49], v[48:49], v[52:53]
	v_fmac_f64_e32 v[50:51], v[50:51], v[54:55]
	v_fma_f64 v[52:53], -v[40:41], v[48:49], 1.0
	v_fma_f64 v[54:55], -v[44:45], v[50:51], 1.0
	v_fmac_f64_e32 v[48:49], v[48:49], v[52:53]
	v_div_scale_f64 v[46:47], s[0:1], v[20:21], v[22:23], v[20:21]
	v_fmac_f64_e32 v[50:51], v[50:51], v[54:55]
	v_mul_f64 v[52:53], v[42:43], v[48:49]
	v_mul_f64 v[54:55], v[46:47], v[50:51]
	v_fma_f64 v[40:41], -v[40:41], v[52:53], v[42:43]
	v_fma_f64 v[42:43], -v[44:45], v[54:55], v[46:47]
	v_div_fmas_f64 v[40:41], v[40:41], v[48:49], v[52:53]
	s_mov_b64 vcc, s[0:1]
	v_div_fmas_f64 v[42:43], v[42:43], v[50:51], v[54:55]
	v_div_fixup_f64 v[40:41], v[40:41], v[22:23], v[4:5]
	v_div_fixup_f64 v[22:23], v[42:43], v[22:23], v[20:21]
	s_waitcnt vmcnt(2)
	v_mul_f64 v[42:43], v[28:29], v[40:41]
	s_waitcnt vmcnt(1)
	v_mul_f64 v[44:45], v[40:41], v[30:31]
	v_mul_f64 v[20:21], v[20:21], v[22:23]
	;; [unrolled: 1-line block ×4, first 2 shown]
	s_waitcnt vmcnt(0)
	v_mul_f64 v[46:47], v[32:33], v[22:23]
	v_fmac_f64_e32 v[20:21], v[4:5], v[40:41]
	v_fma_f64 v[4:5], -v[6:7], v[22:23], v[42:43]
	v_fmac_f64_e32 v[28:29], v[6:7], v[40:41]
	v_mul_f64 v[6:7], v[32:33], v[40:41]
	v_fmac_f64_e32 v[30:31], v[8:9], v[40:41]
	v_fma_f64 v[8:9], -v[8:9], v[22:23], v[44:45]
	global_store_dwordx2 v[36:37], v[46:47], off
	global_store_dwordx2 v[16:17], v[20:21], off
	;; [unrolled: 1-line block ×7, first 2 shown]
	s_cbranch_scc0 .LBB5_3
.LBB5_4:
	s_mul_i32 s0, s14, s18
	v_add_u32_e32 v4, s0, v2
	v_ashrrev_i32_e32 v5, 31, v4
	v_lshlrev_b64 v[4:5], 3, v[4:5]
	s_waitcnt lgkmcnt(0)
	v_lshl_add_u64 v[6:7], s[10:11], 0, v[4:5]
	v_lshl_add_u64 v[4:5], s[4:5], 0, v[4:5]
	global_load_dwordx2 v[8:9], v[6:7], off
	s_sub_i32 s1, s0, s14
	global_load_dwordx2 v[4:5], v[4:5], off
	v_add_u32_e32 v10, s1, v2
	v_ashrrev_i32_e32 v11, 31, v10
	v_lshlrev_b64 v[10:11], 3, v[10:11]
	v_lshl_add_u64 v[12:13], s[10:11], 0, v[10:11]
	v_lshl_add_u64 v[14:15], s[6:7], 0, v[10:11]
	global_load_dwordx2 v[14:15], v[14:15], off
	s_cmp_lt_i32 s12, 3
	s_waitcnt vmcnt(1)
	v_div_scale_f64 v[16:17], s[2:3], v[4:5], v[4:5], v[8:9]
	v_rcp_f64_e32 v[18:19], v[16:17]
	v_div_scale_f64 v[20:21], vcc, v[8:9], v[4:5], v[8:9]
	v_fma_f64 v[22:23], -v[16:17], v[18:19], 1.0
	v_fmac_f64_e32 v[18:19], v[18:19], v[22:23]
	v_fma_f64 v[22:23], -v[16:17], v[18:19], 1.0
	v_fmac_f64_e32 v[18:19], v[18:19], v[22:23]
	v_mul_f64 v[22:23], v[20:21], v[18:19]
	v_fma_f64 v[16:17], -v[16:17], v[22:23], v[20:21]
	v_div_fmas_f64 v[16:17], v[16:17], v[18:19], v[22:23]
	v_div_fixup_f64 v[4:5], v[16:17], v[4:5], v[8:9]
	global_store_dwordx2 v[6:7], v[4:5], off
	global_load_dwordx2 v[6:7], v[12:13], off
	v_lshl_add_u64 v[8:9], s[4:5], 0, v[10:11]
	global_load_dwordx2 v[8:9], v[8:9], off
	s_waitcnt vmcnt(1)
	v_fma_f64 v[4:5], -v[4:5], v[14:15], v[6:7]
	s_waitcnt vmcnt(0)
	v_div_scale_f64 v[6:7], s[2:3], v[8:9], v[8:9], v[4:5]
	v_rcp_f64_e32 v[10:11], v[6:7]
	v_div_scale_f64 v[14:15], vcc, v[4:5], v[8:9], v[4:5]
	v_fma_f64 v[16:17], -v[6:7], v[10:11], 1.0
	v_fmac_f64_e32 v[10:11], v[10:11], v[16:17]
	v_fma_f64 v[16:17], -v[6:7], v[10:11], 1.0
	v_fmac_f64_e32 v[10:11], v[10:11], v[16:17]
	v_mul_f64 v[16:17], v[14:15], v[10:11]
	v_fma_f64 v[6:7], -v[6:7], v[16:17], v[14:15]
	v_div_fmas_f64 v[6:7], v[6:7], v[10:11], v[16:17]
	v_div_fixup_f64 v[4:5], v[6:7], v[8:9], v[4:5]
	global_store_dwordx2 v[12:13], v[4:5], off
	s_cbranch_scc1 .LBB5_7
; %bb.5:
	s_add_i32 s3, s12, -3
	s_mul_i32 s2, s13, s3
	s_add_i32 s1, s12, -2
	s_add_i32 s15, s15, s2
	v_add_u32_e32 v0, s15, v0
	s_mul_i32 s2, s14, s1
	s_mul_i32 s3, s14, s3
.LBB5_6:                                ; =>This Inner Loop Header: Depth=1
	v_add_u32_e32 v4, s3, v2
	v_add_u32_e32 v6, s2, v2
	;; [unrolled: 1-line block ×3, first 2 shown]
	v_ashrrev_i32_e32 v5, 31, v4
	v_ashrrev_i32_e32 v1, 31, v0
	;; [unrolled: 1-line block ×4, first 2 shown]
	v_lshlrev_b64 v[4:5], 3, v[4:5]
	v_lshl_add_u64 v[10:11], v[0:1], 3, s[8:9]
	v_lshl_add_u64 v[6:7], v[6:7], 3, s[10:11]
	;; [unrolled: 1-line block ×4, first 2 shown]
	global_load_dwordx2 v[10:11], v[10:11], off
	v_lshl_add_u64 v[14:15], s[6:7], 0, v[4:5]
	global_load_dwordx2 v[16:17], v[6:7], off
	global_load_dwordx2 v[18:19], v[8:9], off
	v_lshl_add_u64 v[4:5], s[4:5], 0, v[4:5]
	global_load_dwordx2 v[6:7], v[12:13], off
	global_load_dwordx2 v[8:9], v[14:15], off
	global_load_dwordx2 v[20:21], v[4:5], off
	s_add_i32 s1, s1, -1
	v_subrev_u32_e32 v2, s14, v2
	v_subrev_u32_e32 v0, s13, v0
	s_cmp_lg_u32 s1, 0
	s_waitcnt vmcnt(1)
	v_fma_f64 v[4:5], -v[8:9], v[16:17], v[6:7]
	v_fma_f64 v[4:5], -v[10:11], v[18:19], v[4:5]
	s_waitcnt vmcnt(0)
	v_div_scale_f64 v[6:7], s[16:17], v[20:21], v[20:21], v[4:5]
	v_rcp_f64_e32 v[8:9], v[6:7]
	v_div_scale_f64 v[10:11], vcc, v[4:5], v[20:21], v[4:5]
	v_fma_f64 v[14:15], -v[6:7], v[8:9], 1.0
	v_fmac_f64_e32 v[8:9], v[8:9], v[14:15]
	v_fma_f64 v[14:15], -v[6:7], v[8:9], 1.0
	v_fmac_f64_e32 v[8:9], v[8:9], v[14:15]
	v_mul_f64 v[14:15], v[10:11], v[8:9]
	v_fma_f64 v[6:7], -v[6:7], v[14:15], v[10:11]
	v_div_fmas_f64 v[6:7], v[6:7], v[8:9], v[14:15]
	v_div_fixup_f64 v[4:5], v[6:7], v[20:21], v[4:5]
	global_store_dwordx2 v[12:13], v[4:5], off
	s_cbranch_scc1 .LBB5_6
.LBB5_7:
	s_endpgm
	.section	.rodata,"a",@progbits
	.p2align	6, 0x0
	.amdhsa_kernel _ZN9rocsparseL32gtsv_interleaved_batch_qr_kernelILj128EdEEviiiPKT0_PS1_S4_S4_S4_
		.amdhsa_group_segment_fixed_size 0
		.amdhsa_private_segment_fixed_size 0
		.amdhsa_kernarg_size 56
		.amdhsa_user_sgpr_count 2
		.amdhsa_user_sgpr_dispatch_ptr 0
		.amdhsa_user_sgpr_queue_ptr 0
		.amdhsa_user_sgpr_kernarg_segment_ptr 1
		.amdhsa_user_sgpr_dispatch_id 0
		.amdhsa_user_sgpr_kernarg_preload_length 0
		.amdhsa_user_sgpr_kernarg_preload_offset 0
		.amdhsa_user_sgpr_private_segment_size 0
		.amdhsa_uses_dynamic_stack 0
		.amdhsa_enable_private_segment 0
		.amdhsa_system_sgpr_workgroup_id_x 1
		.amdhsa_system_sgpr_workgroup_id_y 0
		.amdhsa_system_sgpr_workgroup_id_z 0
		.amdhsa_system_sgpr_workgroup_info 0
		.amdhsa_system_vgpr_workitem_id 0
		.amdhsa_next_free_vgpr 56
		.amdhsa_next_free_sgpr 20
		.amdhsa_accum_offset 56
		.amdhsa_reserve_vcc 1
		.amdhsa_float_round_mode_32 0
		.amdhsa_float_round_mode_16_64 0
		.amdhsa_float_denorm_mode_32 3
		.amdhsa_float_denorm_mode_16_64 3
		.amdhsa_dx10_clamp 1
		.amdhsa_ieee_mode 1
		.amdhsa_fp16_overflow 0
		.amdhsa_tg_split 0
		.amdhsa_exception_fp_ieee_invalid_op 0
		.amdhsa_exception_fp_denorm_src 0
		.amdhsa_exception_fp_ieee_div_zero 0
		.amdhsa_exception_fp_ieee_overflow 0
		.amdhsa_exception_fp_ieee_underflow 0
		.amdhsa_exception_fp_ieee_inexact 0
		.amdhsa_exception_int_div_zero 0
	.end_amdhsa_kernel
	.section	.text._ZN9rocsparseL32gtsv_interleaved_batch_qr_kernelILj128EdEEviiiPKT0_PS1_S4_S4_S4_,"axG",@progbits,_ZN9rocsparseL32gtsv_interleaved_batch_qr_kernelILj128EdEEviiiPKT0_PS1_S4_S4_S4_,comdat
.Lfunc_end5:
	.size	_ZN9rocsparseL32gtsv_interleaved_batch_qr_kernelILj128EdEEviiiPKT0_PS1_S4_S4_S4_, .Lfunc_end5-_ZN9rocsparseL32gtsv_interleaved_batch_qr_kernelILj128EdEEviiiPKT0_PS1_S4_S4_S4_
                                        ; -- End function
	.set _ZN9rocsparseL32gtsv_interleaved_batch_qr_kernelILj128EdEEviiiPKT0_PS1_S4_S4_S4_.num_vgpr, 56
	.set _ZN9rocsparseL32gtsv_interleaved_batch_qr_kernelILj128EdEEviiiPKT0_PS1_S4_S4_S4_.num_agpr, 0
	.set _ZN9rocsparseL32gtsv_interleaved_batch_qr_kernelILj128EdEEviiiPKT0_PS1_S4_S4_S4_.numbered_sgpr, 20
	.set _ZN9rocsparseL32gtsv_interleaved_batch_qr_kernelILj128EdEEviiiPKT0_PS1_S4_S4_S4_.num_named_barrier, 0
	.set _ZN9rocsparseL32gtsv_interleaved_batch_qr_kernelILj128EdEEviiiPKT0_PS1_S4_S4_S4_.private_seg_size, 0
	.set _ZN9rocsparseL32gtsv_interleaved_batch_qr_kernelILj128EdEEviiiPKT0_PS1_S4_S4_S4_.uses_vcc, 1
	.set _ZN9rocsparseL32gtsv_interleaved_batch_qr_kernelILj128EdEEviiiPKT0_PS1_S4_S4_S4_.uses_flat_scratch, 0
	.set _ZN9rocsparseL32gtsv_interleaved_batch_qr_kernelILj128EdEEviiiPKT0_PS1_S4_S4_S4_.has_dyn_sized_stack, 0
	.set _ZN9rocsparseL32gtsv_interleaved_batch_qr_kernelILj128EdEEviiiPKT0_PS1_S4_S4_S4_.has_recursion, 0
	.set _ZN9rocsparseL32gtsv_interleaved_batch_qr_kernelILj128EdEEviiiPKT0_PS1_S4_S4_S4_.has_indirect_call, 0
	.section	.AMDGPU.csdata,"",@progbits
; Kernel info:
; codeLenInByte = 1364
; TotalNumSgprs: 26
; NumVgprs: 56
; NumAgprs: 0
; TotalNumVgprs: 56
; ScratchSize: 0
; MemoryBound: 0
; FloatMode: 240
; IeeeMode: 1
; LDSByteSize: 0 bytes/workgroup (compile time only)
; SGPRBlocks: 3
; VGPRBlocks: 6
; NumSGPRsForWavesPerEU: 26
; NumVGPRsForWavesPerEU: 56
; AccumOffset: 56
; Occupancy: 8
; WaveLimiterHint : 0
; COMPUTE_PGM_RSRC2:SCRATCH_EN: 0
; COMPUTE_PGM_RSRC2:USER_SGPR: 2
; COMPUTE_PGM_RSRC2:TRAP_HANDLER: 0
; COMPUTE_PGM_RSRC2:TGID_X_EN: 1
; COMPUTE_PGM_RSRC2:TGID_Y_EN: 0
; COMPUTE_PGM_RSRC2:TGID_Z_EN: 0
; COMPUTE_PGM_RSRC2:TIDIG_COMP_CNT: 0
; COMPUTE_PGM_RSRC3_GFX90A:ACCUM_OFFSET: 13
; COMPUTE_PGM_RSRC3_GFX90A:TG_SPLIT: 0
	.section	.text._ZN9rocsparseL36gtsv_interleaved_batch_thomas_kernelILj128E21rocsparse_complex_numIfEEEviiiPKT0_S5_S5_PS3_S6_S6_,"axG",@progbits,_ZN9rocsparseL36gtsv_interleaved_batch_thomas_kernelILj128E21rocsparse_complex_numIfEEEviiiPKT0_S5_S5_PS3_S6_S6_,comdat
	.globl	_ZN9rocsparseL36gtsv_interleaved_batch_thomas_kernelILj128E21rocsparse_complex_numIfEEEviiiPKT0_S5_S5_PS3_S6_S6_ ; -- Begin function _ZN9rocsparseL36gtsv_interleaved_batch_thomas_kernelILj128E21rocsparse_complex_numIfEEEviiiPKT0_S5_S5_PS3_S6_S6_
	.p2align	8
	.type	_ZN9rocsparseL36gtsv_interleaved_batch_thomas_kernelILj128E21rocsparse_complex_numIfEEEviiiPKT0_S5_S5_PS3_S6_S6_,@function
_ZN9rocsparseL36gtsv_interleaved_batch_thomas_kernelILj128E21rocsparse_complex_numIfEEEviiiPKT0_S5_S5_PS3_S6_S6_: ; @_ZN9rocsparseL36gtsv_interleaved_batch_thomas_kernelILj128E21rocsparse_complex_numIfEEEviiiPKT0_S5_S5_PS3_S6_S6_
; %bb.0:
	s_load_dwordx4 s[12:15], s[0:1], 0x0
	s_lshl_b32 s20, s2, 7
	v_or_b32_e32 v2, s20, v0
	s_waitcnt lgkmcnt(0)
	v_cmp_gt_i32_e32 vcc, s13, v2
	s_and_saveexec_b64 s[2:3], vcc
	s_cbranch_execz .LBB6_9
; %bb.1:
	s_load_dwordx8 s[4:11], s[0:1], 0x18
	s_load_dwordx2 s[16:17], s[0:1], 0x38
	v_ashrrev_i32_e32 v3, 31, v2
	v_lshlrev_b64 v[10:11], 3, v[2:3]
	s_cmp_gt_i32 s12, 1
	s_waitcnt lgkmcnt(0)
	v_lshl_add_u64 v[2:3], s[6:7], 0, v[10:11]
	v_lshl_add_u64 v[4:5], s[4:5], 0, v[10:11]
	global_load_dwordx2 v[8:9], v[2:3], off
	global_load_dwordx2 v[12:13], v[4:5], off
	v_lshl_add_u64 v[2:3], s[16:17], 0, v[10:11]
	global_load_dwordx2 v[14:15], v[2:3], off
	s_cselect_b64 s[18:19], -1, 0
	s_and_b64 s[2:3], exec, s[18:19]
	v_lshl_add_u64 v[4:5], s[8:9], 0, v[10:11]
	v_lshl_add_u64 v[6:7], s[10:11], 0, v[10:11]
	s_waitcnt vmcnt(1)
	v_mul_f32_e32 v1, v13, v13
	v_pk_mul_f32 v[16:17], v[12:13], v[8:9] op_sel:[1,1] op_sel_hi:[1,0] neg_hi:[0,1]
	v_fmac_f32_e32 v1, v12, v12
	v_pk_fma_f32 v[8:9], v[8:9], v[12:13], v[16:17] op_sel_hi:[1,0,1]
	v_div_scale_f32 v16, s[22:23], v1, v1, 1.0
	v_rcp_f32_e32 v17, v16
	s_waitcnt vmcnt(0)
	v_pk_mul_f32 v[18:19], v[12:13], v[14:15] op_sel:[1,1] op_sel_hi:[1,0] neg_hi:[0,1]
	s_nop 0
	v_pk_fma_f32 v[12:13], v[14:15], v[12:13], v[18:19] op_sel_hi:[1,0,1]
	v_fma_f32 v15, -v16, v17, 1.0
	v_div_scale_f32 v14, vcc, 1.0, v1, 1.0
	v_fmac_f32_e32 v17, v15, v17
	v_mul_f32_e32 v15, v14, v17
	v_fma_f32 v18, -v16, v15, v14
	v_fmac_f32_e32 v15, v18, v17
	v_fma_f32 v14, -v16, v15, v14
	v_div_fmas_f32 v14, v14, v17, v15
	v_div_fixup_f32 v14, v14, v1, 1.0
	v_pk_mul_f32 v[8:9], v[14:15], v[8:9] op_sel_hi:[0,1]
	s_mov_b64 vcc, s[2:3]
	v_pk_mul_f32 v[12:13], v[14:15], v[12:13] op_sel_hi:[0,1]
	global_store_dwordx2 v[4:5], v[8:9], off
	global_store_dwordx2 v[6:7], v[12:13], off
	s_cbranch_vccnz .LBB6_3
; %bb.2:
	s_add_i32 s24, s12, -1
	s_cbranch_execz .LBB6_4
	s_branch .LBB6_6
.LBB6_3:
                                        ; implicit-def: $sgpr24
.LBB6_4:
	s_load_dwordx2 s[0:1], s[0:1], 0x10
	s_add_i32 s20, s20, s14
	s_ashr_i32 s15, s14, 31
	v_add_u32_e32 v0, s20, v0
	s_ashr_i32 s21, s13, 31
	s_mov_b32 s20, s13
	s_add_i32 s24, s12, -1
	s_lshl_b64 s[2:3], s[14:15], 3
	s_lshl_b64 s[20:21], s[20:21], 3
	v_lshl_add_u64 v[8:9], s[2:3], 0, v[10:11]
	v_lshl_add_u64 v[10:11], s[20:21], 0, v[10:11]
	s_mov_b32 s22, 0
	s_mov_b32 s15, s24
.LBB6_5:                                ; =>This Inner Loop Header: Depth=1
	v_ashrrev_i32_e32 v1, 31, v0
	s_ashr_i32 s23, s22, 31
	s_waitcnt lgkmcnt(0)
	v_lshl_add_u64 v[16:17], v[0:1], 3, s[0:1]
	s_lshl_b64 s[26:27], s[22:23], 3
	v_lshl_add_u64 v[14:15], s[4:5], 0, v[8:9]
	global_load_dwordx2 v[16:17], v[16:17], off
	v_lshl_add_u64 v[18:19], v[4:5], 0, s[26:27]
	v_lshl_add_u64 v[12:13], s[6:7], 0, v[8:9]
	global_load_dwordx2 v[14:15], v[14:15], off
	s_nop 0
	global_load_dwordx2 v[20:21], v[18:19], off
	global_load_dwordx2 v[22:23], v[12:13], off
	v_lshl_add_u64 v[26:27], v[6:7], 0, s[26:27]
	global_load_dwordx2 v[26:27], v[26:27], off
	v_lshl_add_u64 v[24:25], s[8:9], 0, v[10:11]
	v_lshl_add_u64 v[12:13], s[16:17], 0, v[8:9]
	s_add_i32 s15, s15, -1
	s_add_i32 s22, s22, s13
	v_lshl_add_u64 v[8:9], v[8:9], 0, s[2:3]
	v_add_u32_e32 v0, s14, v0
	s_cmp_eq_u32 s15, 0
	s_waitcnt vmcnt(2)
	v_mul_f32_e32 v28, v17, v20
	v_mul_f32_e64 v1, v17, -v21
	v_fmac_f32_e32 v28, v21, v16
	v_fmac_f32_e32 v1, v20, v16
	v_sub_f32_e32 v28, v15, v28
	v_sub_f32_e32 v20, v14, v1
	v_mul_f32_e32 v1, v28, v28
	s_waitcnt vmcnt(1)
	v_pk_mul_f32 v[28:29], v[28:29], v[22:23] op_sel:[0,1] op_sel_hi:[0,0] neg_hi:[0,1]
	v_fmac_f32_e32 v1, v20, v20
	v_pk_fma_f32 v[20:21], v[22:23], v[20:21], v[28:29] op_sel_hi:[1,0,1]
	v_div_scale_f32 v22, s[26:27], v1, v1, 1.0
	v_rcp_f32_e32 v28, v22
	v_div_scale_f32 v23, vcc, 1.0, v1, 1.0
	v_fma_f32 v29, -v22, v28, 1.0
	v_fmac_f32_e32 v28, v29, v28
	v_mul_f32_e32 v29, v23, v28
	v_fma_f32 v30, -v22, v29, v23
	v_fmac_f32_e32 v29, v30, v28
	v_fma_f32 v22, -v22, v29, v23
	v_div_fmas_f32 v22, v22, v28, v29
	v_div_fixup_f32 v22, v22, v1, 1.0
	v_pk_mul_f32 v[20:21], v[20:21], v[22:23] op_sel_hi:[1,0]
	global_store_dwordx2 v[24:25], v[20:21], off
	global_load_dwordx2 v[20:21], v[18:19], off
	s_nop 0
	global_load_dwordx2 v[22:23], v[12:13], off
	s_waitcnt vmcnt(3)
	v_xor_b32_e32 v18, 0x80000000, v27
	v_mov_b32_e32 v19, v26
	v_pk_mul_f32 v[18:19], v[16:17], v[18:19] op_sel:[1,0]
	v_lshl_add_u64 v[12:13], s[10:11], 0, v[10:11]
	v_pk_fma_f32 v[18:19], v[26:27], v[16:17], v[18:19] op_sel_hi:[1,0,1]
	v_lshl_add_u64 v[10:11], v[10:11], 0, s[20:21]
	s_waitcnt vmcnt(1)
	v_mul_f32_e64 v1, v17, -v21
	v_mul_f32_e32 v17, v17, v20
	v_fmac_f32_e32 v17, v21, v16
	s_waitcnt vmcnt(0)
	v_pk_add_f32 v[18:19], v[22:23], v[18:19] neg_lo:[0,1] neg_hi:[0,1]
	v_fmac_f32_e32 v1, v20, v16
	v_sub_f32_e32 v16, v15, v17
	v_xor_b32_e32 v23, 0x80000000, v18
	v_mov_b32_e32 v22, v19
	v_sub_f32_e32 v14, v14, v1
	v_mul_f32_e32 v1, v16, v16
	v_pk_mul_f32 v[16:17], v[16:17], v[22:23] op_sel_hi:[0,1]
	v_fmac_f32_e32 v1, v14, v14
	v_pk_fma_f32 v[14:15], v[18:19], v[14:15], v[16:17] op_sel_hi:[1,0,1]
	v_div_scale_f32 v16, s[26:27], v1, v1, 1.0
	v_rcp_f32_e32 v17, v16
	v_div_scale_f32 v18, vcc, 1.0, v1, 1.0
	v_fma_f32 v19, -v16, v17, 1.0
	v_fmac_f32_e32 v17, v19, v17
	v_mul_f32_e32 v19, v18, v17
	v_fma_f32 v20, -v16, v19, v18
	v_fmac_f32_e32 v19, v20, v17
	v_fma_f32 v16, -v16, v19, v18
	v_div_fmas_f32 v16, v16, v17, v19
	v_div_fixup_f32 v16, v16, v1, 1.0
	v_pk_mul_f32 v[14:15], v[14:15], v[16:17] op_sel_hi:[1,0]
	global_store_dwordx2 v[12:13], v[14:15], off
	s_cbranch_scc0 .LBB6_5
.LBB6_6:
	s_mul_i32 s0, s13, s24
	s_ashr_i32 s1, s0, 31
	v_lshl_add_u64 v[0:1], s[0:1], 3, v[6:7]
	global_load_dwordx2 v[0:1], v[0:1], off
	s_mul_i32 s0, s14, s24
	s_ashr_i32 s1, s0, 31
	v_lshl_add_u64 v[8:9], s[0:1], 3, v[2:3]
	s_andn2_b64 vcc, exec, s[18:19]
	s_waitcnt vmcnt(0)
	global_store_dwordx2 v[8:9], v[0:1], off
	s_cbranch_vccnz .LBB6_9
; %bb.7:
	s_add_i32 s2, s12, -2
	s_mul_i32 s1, s14, s2
	s_mul_i32 s2, s13, s2
	s_mov_b32 s4, 0
.LBB6_8:                                ; =>This Inner Loop Header: Depth=1
	s_ashr_i32 s3, s2, 31
	s_add_i32 s6, s0, s4
	s_lshl_b64 s[8:9], s[2:3], 3
	s_ashr_i32 s7, s6, 31
	v_lshl_add_u64 v[0:1], v[4:5], 0, s[8:9]
	v_lshl_add_u64 v[8:9], s[6:7], 3, v[2:3]
	global_load_dwordx2 v[10:11], v[0:1], off
	global_load_dwordx2 v[12:13], v[8:9], off
	v_lshl_add_u64 v[0:1], v[6:7], 0, s[8:9]
	global_load_dwordx2 v[0:1], v[0:1], off
	s_add_i32 s6, s1, s4
	s_add_i32 s24, s24, -1
	s_sub_i32 s4, s4, s14
	s_ashr_i32 s7, s6, 31
	s_sub_i32 s2, s2, s13
	v_lshl_add_u64 v[8:9], s[6:7], 3, v[2:3]
	s_cmp_lg_u32 s24, 0
	s_waitcnt vmcnt(2)
	v_xor_b32_e32 v14, 0x80000000, v11
	v_mov_b32_e32 v15, v10
	s_waitcnt vmcnt(1)
	v_pk_mul_f32 v[14:15], v[12:13], v[14:15] op_sel:[1,0]
	s_nop 0
	v_pk_fma_f32 v[10:11], v[10:11], v[12:13], v[14:15] op_sel_hi:[1,0,1]
	s_waitcnt vmcnt(0)
	v_pk_add_f32 v[0:1], v[0:1], v[10:11] neg_lo:[0,1] neg_hi:[0,1]
	global_store_dwordx2 v[8:9], v[0:1], off
	s_cbranch_scc1 .LBB6_8
.LBB6_9:
	s_endpgm
	.section	.rodata,"a",@progbits
	.p2align	6, 0x0
	.amdhsa_kernel _ZN9rocsparseL36gtsv_interleaved_batch_thomas_kernelILj128E21rocsparse_complex_numIfEEEviiiPKT0_S5_S5_PS3_S6_S6_
		.amdhsa_group_segment_fixed_size 0
		.amdhsa_private_segment_fixed_size 0
		.amdhsa_kernarg_size 64
		.amdhsa_user_sgpr_count 2
		.amdhsa_user_sgpr_dispatch_ptr 0
		.amdhsa_user_sgpr_queue_ptr 0
		.amdhsa_user_sgpr_kernarg_segment_ptr 1
		.amdhsa_user_sgpr_dispatch_id 0
		.amdhsa_user_sgpr_kernarg_preload_length 0
		.amdhsa_user_sgpr_kernarg_preload_offset 0
		.amdhsa_user_sgpr_private_segment_size 0
		.amdhsa_uses_dynamic_stack 0
		.amdhsa_enable_private_segment 0
		.amdhsa_system_sgpr_workgroup_id_x 1
		.amdhsa_system_sgpr_workgroup_id_y 0
		.amdhsa_system_sgpr_workgroup_id_z 0
		.amdhsa_system_sgpr_workgroup_info 0
		.amdhsa_system_vgpr_workitem_id 0
		.amdhsa_next_free_vgpr 31
		.amdhsa_next_free_sgpr 28
		.amdhsa_accum_offset 32
		.amdhsa_reserve_vcc 1
		.amdhsa_float_round_mode_32 0
		.amdhsa_float_round_mode_16_64 0
		.amdhsa_float_denorm_mode_32 3
		.amdhsa_float_denorm_mode_16_64 3
		.amdhsa_dx10_clamp 1
		.amdhsa_ieee_mode 1
		.amdhsa_fp16_overflow 0
		.amdhsa_tg_split 0
		.amdhsa_exception_fp_ieee_invalid_op 0
		.amdhsa_exception_fp_denorm_src 0
		.amdhsa_exception_fp_ieee_div_zero 0
		.amdhsa_exception_fp_ieee_overflow 0
		.amdhsa_exception_fp_ieee_underflow 0
		.amdhsa_exception_fp_ieee_inexact 0
		.amdhsa_exception_int_div_zero 0
	.end_amdhsa_kernel
	.section	.text._ZN9rocsparseL36gtsv_interleaved_batch_thomas_kernelILj128E21rocsparse_complex_numIfEEEviiiPKT0_S5_S5_PS3_S6_S6_,"axG",@progbits,_ZN9rocsparseL36gtsv_interleaved_batch_thomas_kernelILj128E21rocsparse_complex_numIfEEEviiiPKT0_S5_S5_PS3_S6_S6_,comdat
.Lfunc_end6:
	.size	_ZN9rocsparseL36gtsv_interleaved_batch_thomas_kernelILj128E21rocsparse_complex_numIfEEEviiiPKT0_S5_S5_PS3_S6_S6_, .Lfunc_end6-_ZN9rocsparseL36gtsv_interleaved_batch_thomas_kernelILj128E21rocsparse_complex_numIfEEEviiiPKT0_S5_S5_PS3_S6_S6_
                                        ; -- End function
	.set _ZN9rocsparseL36gtsv_interleaved_batch_thomas_kernelILj128E21rocsparse_complex_numIfEEEviiiPKT0_S5_S5_PS3_S6_S6_.num_vgpr, 31
	.set _ZN9rocsparseL36gtsv_interleaved_batch_thomas_kernelILj128E21rocsparse_complex_numIfEEEviiiPKT0_S5_S5_PS3_S6_S6_.num_agpr, 0
	.set _ZN9rocsparseL36gtsv_interleaved_batch_thomas_kernelILj128E21rocsparse_complex_numIfEEEviiiPKT0_S5_S5_PS3_S6_S6_.numbered_sgpr, 28
	.set _ZN9rocsparseL36gtsv_interleaved_batch_thomas_kernelILj128E21rocsparse_complex_numIfEEEviiiPKT0_S5_S5_PS3_S6_S6_.num_named_barrier, 0
	.set _ZN9rocsparseL36gtsv_interleaved_batch_thomas_kernelILj128E21rocsparse_complex_numIfEEEviiiPKT0_S5_S5_PS3_S6_S6_.private_seg_size, 0
	.set _ZN9rocsparseL36gtsv_interleaved_batch_thomas_kernelILj128E21rocsparse_complex_numIfEEEviiiPKT0_S5_S5_PS3_S6_S6_.uses_vcc, 1
	.set _ZN9rocsparseL36gtsv_interleaved_batch_thomas_kernelILj128E21rocsparse_complex_numIfEEEviiiPKT0_S5_S5_PS3_S6_S6_.uses_flat_scratch, 0
	.set _ZN9rocsparseL36gtsv_interleaved_batch_thomas_kernelILj128E21rocsparse_complex_numIfEEEviiiPKT0_S5_S5_PS3_S6_S6_.has_dyn_sized_stack, 0
	.set _ZN9rocsparseL36gtsv_interleaved_batch_thomas_kernelILj128E21rocsparse_complex_numIfEEEviiiPKT0_S5_S5_PS3_S6_S6_.has_recursion, 0
	.set _ZN9rocsparseL36gtsv_interleaved_batch_thomas_kernelILj128E21rocsparse_complex_numIfEEEviiiPKT0_S5_S5_PS3_S6_S6_.has_indirect_call, 0
	.section	.AMDGPU.csdata,"",@progbits
; Kernel info:
; codeLenInByte = 1148
; TotalNumSgprs: 34
; NumVgprs: 31
; NumAgprs: 0
; TotalNumVgprs: 31
; ScratchSize: 0
; MemoryBound: 0
; FloatMode: 240
; IeeeMode: 1
; LDSByteSize: 0 bytes/workgroup (compile time only)
; SGPRBlocks: 4
; VGPRBlocks: 3
; NumSGPRsForWavesPerEU: 34
; NumVGPRsForWavesPerEU: 31
; AccumOffset: 32
; Occupancy: 8
; WaveLimiterHint : 0
; COMPUTE_PGM_RSRC2:SCRATCH_EN: 0
; COMPUTE_PGM_RSRC2:USER_SGPR: 2
; COMPUTE_PGM_RSRC2:TRAP_HANDLER: 0
; COMPUTE_PGM_RSRC2:TGID_X_EN: 1
; COMPUTE_PGM_RSRC2:TGID_Y_EN: 0
; COMPUTE_PGM_RSRC2:TGID_Z_EN: 0
; COMPUTE_PGM_RSRC2:TIDIG_COMP_CNT: 0
; COMPUTE_PGM_RSRC3_GFX90A:ACCUM_OFFSET: 7
; COMPUTE_PGM_RSRC3_GFX90A:TG_SPLIT: 0
	.section	.text._ZN9rocsparseL32gtsv_interleaved_batch_lu_kernelILj128E21rocsparse_complex_numIfEEEviiiPT0_S4_S4_S4_PiS4_,"axG",@progbits,_ZN9rocsparseL32gtsv_interleaved_batch_lu_kernelILj128E21rocsparse_complex_numIfEEEviiiPT0_S4_S4_S4_PiS4_,comdat
	.globl	_ZN9rocsparseL32gtsv_interleaved_batch_lu_kernelILj128E21rocsparse_complex_numIfEEEviiiPT0_S4_S4_S4_PiS4_ ; -- Begin function _ZN9rocsparseL32gtsv_interleaved_batch_lu_kernelILj128E21rocsparse_complex_numIfEEEviiiPT0_S4_S4_S4_PiS4_
	.p2align	8
	.type	_ZN9rocsparseL32gtsv_interleaved_batch_lu_kernelILj128E21rocsparse_complex_numIfEEEviiiPT0_S4_S4_S4_PiS4_,@function
_ZN9rocsparseL32gtsv_interleaved_batch_lu_kernelILj128E21rocsparse_complex_numIfEEEviiiPT0_S4_S4_S4_PiS4_: ; @_ZN9rocsparseL32gtsv_interleaved_batch_lu_kernelILj128E21rocsparse_complex_numIfEEEviiiPT0_S4_S4_S4_PiS4_
; %bb.0:
	s_load_dwordx4 s[12:15], s[0:1], 0x0
	s_waitcnt lgkmcnt(0)
	s_lshl_b32 s15, s2, 7
	v_or_b32_e32 v2, s15, v0
	v_cmp_gt_i32_e32 vcc, s13, v2
	s_and_saveexec_b64 s[2:3], vcc
	s_cbranch_execz .LBB7_31
; %bb.1:
	s_load_dwordx8 s[4:11], s[0:1], 0x18
	s_load_dwordx2 s[2:3], s[0:1], 0x38
	v_ashrrev_i32_e32 v3, 31, v2
	s_add_i32 s22, s12, -1
	v_mov_b32_e32 v1, 0
	s_waitcnt lgkmcnt(0)
	v_lshl_add_u64 v[4:5], v[2:3], 2, s[10:11]
	s_cmp_lt_i32 s12, 2
	global_store_dword v[4:5], v1, off
	s_cbranch_scc1 .LBB7_28
; %bb.2:
	s_load_dwordx2 s[16:17], s[0:1], 0x10
	s_mov_b32 s24, 0
	s_mov_b32 s23, 0xf800000
	v_mov_b32_e32 v1, 0x260
	s_branch .LBB7_4
.LBB7_3:                                ;   in Loop: Header=BB7_4 Depth=1
	s_or_b64 exec, exec, s[18:19]
	v_lshl_add_u64 v[6:7], v[6:7], 3, s[6:7]
	s_cmp_lg_u32 s20, s22
	s_mov_b32 s24, s20
	global_store_dword v[6:7], v3, off offset:4
	s_cbranch_scc0 .LBB7_20
.LBB7_4:                                ; =>This Inner Loop Header: Depth=1
	s_mul_i32 s0, s24, s14
	v_add_u32_e32 v16, s0, v2
	v_ashrrev_i32_e32 v17, 31, v16
	v_lshl_add_u64 v[14:15], v[16:17], 3, s[4:5]
	global_load_dwordx2 v[10:11], v[14:15], off
	v_add_u32_e32 v6, s14, v16
	v_ashrrev_i32_e32 v7, 31, v6
	s_waitcnt lgkmcnt(0)
	v_lshl_add_u64 v[8:9], v[6:7], 3, s[16:17]
	global_load_dwordx2 v[12:13], v[8:9], off
                                        ; implicit-def: $vgpr3
	s_waitcnt vmcnt(1)
	v_cmp_gt_f32_e32 vcc, 0, v10
	s_nop 1
	v_cndmask_b32_e64 v18, v10, -v10, vcc
	v_cmp_gt_f32_e32 vcc, 0, v11
	s_nop 1
	v_cndmask_b32_e64 v19, v11, -v11, vcc
	v_cmp_ngt_f32_e32 vcc, v18, v19
	s_and_saveexec_b64 s[0:1], vcc
	s_xor_b64 s[18:19], exec, s[0:1]
	s_cbranch_execz .LBB7_8
; %bb.5:                                ;   in Loop: Header=BB7_4 Depth=1
	v_mov_b32_e32 v3, 0
	v_cmp_neq_f32_e32 vcc, 0, v11
	s_and_saveexec_b64 s[20:21], vcc
	s_cbranch_execz .LBB7_7
; %bb.6:                                ;   in Loop: Header=BB7_4 Depth=1
	v_div_scale_f32 v3, s[0:1], v19, v19, v18
	v_rcp_f32_e32 v20, v3
	v_div_scale_f32 v21, vcc, v18, v19, v18
	v_fma_f32 v22, -v3, v20, 1.0
	v_fmac_f32_e32 v20, v22, v20
	v_mul_f32_e32 v22, v21, v20
	v_fma_f32 v23, -v3, v22, v21
	v_fmac_f32_e32 v22, v23, v20
	v_fma_f32 v3, -v3, v22, v21
	v_div_fmas_f32 v3, v3, v20, v22
	v_div_fixup_f32 v3, v3, v19, v18
	v_fma_f32 v3, v3, v3, 1.0
	v_mul_f32_e32 v18, 0x4f800000, v3
	v_cmp_gt_f32_e32 vcc, s23, v3
	s_nop 1
	v_cndmask_b32_e32 v3, v3, v18, vcc
	v_sqrt_f32_e32 v18, v3
	s_nop 0
	v_add_u32_e32 v20, -1, v18
	v_fma_f32 v21, -v20, v18, v3
	v_cmp_ge_f32_e64 s[0:1], 0, v21
	v_add_u32_e32 v21, 1, v18
	s_nop 0
	v_cndmask_b32_e64 v20, v18, v20, s[0:1]
	v_fma_f32 v18, -v21, v18, v3
	v_cmp_lt_f32_e64 s[0:1], 0, v18
	s_nop 1
	v_cndmask_b32_e64 v18, v20, v21, s[0:1]
	v_mul_f32_e32 v20, 0x37800000, v18
	v_cndmask_b32_e32 v18, v18, v20, vcc
	v_cmp_class_f32_e32 vcc, v3, v1
	s_nop 1
	v_cndmask_b32_e32 v3, v18, v3, vcc
	v_mul_f32_e32 v3, v19, v3
.LBB7_7:                                ;   in Loop: Header=BB7_4 Depth=1
	s_or_b64 exec, exec, s[20:21]
                                        ; implicit-def: $vgpr18
                                        ; implicit-def: $vgpr19
.LBB7_8:                                ;   in Loop: Header=BB7_4 Depth=1
	s_andn2_saveexec_b64 s[18:19], s[18:19]
	s_cbranch_execz .LBB7_10
; %bb.9:                                ;   in Loop: Header=BB7_4 Depth=1
	v_div_scale_f32 v3, s[0:1], v18, v18, v19
	v_rcp_f32_e32 v20, v3
	v_div_scale_f32 v21, vcc, v19, v18, v19
	v_fma_f32 v22, -v3, v20, 1.0
	v_fmac_f32_e32 v20, v22, v20
	v_mul_f32_e32 v22, v21, v20
	v_fma_f32 v23, -v3, v22, v21
	v_fmac_f32_e32 v22, v23, v20
	v_fma_f32 v3, -v3, v22, v21
	v_div_fmas_f32 v3, v3, v20, v22
	v_div_fixup_f32 v3, v3, v18, v19
	v_fma_f32 v3, v3, v3, 1.0
	v_mul_f32_e32 v19, 0x4f800000, v3
	v_cmp_gt_f32_e32 vcc, s23, v3
	s_nop 1
	v_cndmask_b32_e32 v3, v3, v19, vcc
	v_sqrt_f32_e32 v19, v3
	s_nop 0
	v_add_u32_e32 v20, -1, v19
	v_fma_f32 v21, -v20, v19, v3
	v_cmp_ge_f32_e64 s[0:1], 0, v21
	v_add_u32_e32 v21, 1, v19
	s_nop 0
	v_cndmask_b32_e64 v20, v19, v20, s[0:1]
	v_fma_f32 v19, -v21, v19, v3
	v_cmp_lt_f32_e64 s[0:1], 0, v19
	s_nop 1
	v_cndmask_b32_e64 v19, v20, v21, s[0:1]
	v_mul_f32_e32 v20, 0x37800000, v19
	v_cndmask_b32_e32 v19, v19, v20, vcc
	v_cmp_class_f32_e32 vcc, v3, v1
	s_nop 1
	v_cndmask_b32_e32 v3, v19, v3, vcc
	v_mul_f32_e32 v3, v18, v3
.LBB7_10:                               ;   in Loop: Header=BB7_4 Depth=1
	s_or_b64 exec, exec, s[18:19]
	s_waitcnt vmcnt(0)
	v_cmp_gt_f32_e32 vcc, 0, v12
                                        ; implicit-def: $vgpr20
	s_nop 1
	v_cndmask_b32_e64 v18, v12, -v12, vcc
	v_cmp_gt_f32_e32 vcc, 0, v13
	s_nop 1
	v_cndmask_b32_e64 v19, v13, -v13, vcc
	v_cmp_ngt_f32_e32 vcc, v18, v19
	s_and_saveexec_b64 s[0:1], vcc
	s_xor_b64 s[18:19], exec, s[0:1]
	s_cbranch_execz .LBB7_14
; %bb.11:                               ;   in Loop: Header=BB7_4 Depth=1
	v_mov_b32_e32 v20, 0
	v_cmp_neq_f32_e32 vcc, 0, v13
	s_and_saveexec_b64 s[20:21], vcc
	s_cbranch_execz .LBB7_13
; %bb.12:                               ;   in Loop: Header=BB7_4 Depth=1
	v_div_scale_f32 v20, s[0:1], v19, v19, v18
	v_rcp_f32_e32 v21, v20
	v_div_scale_f32 v22, vcc, v18, v19, v18
	v_fma_f32 v23, -v20, v21, 1.0
	v_fmac_f32_e32 v21, v23, v21
	v_mul_f32_e32 v23, v22, v21
	v_fma_f32 v24, -v20, v23, v22
	v_fmac_f32_e32 v23, v24, v21
	v_fma_f32 v20, -v20, v23, v22
	v_div_fmas_f32 v20, v20, v21, v23
	v_div_fixup_f32 v18, v20, v19, v18
	v_fma_f32 v18, v18, v18, 1.0
	v_mul_f32_e32 v20, 0x4f800000, v18
	v_cmp_gt_f32_e32 vcc, s23, v18
	s_nop 1
	v_cndmask_b32_e32 v18, v18, v20, vcc
	v_sqrt_f32_e32 v20, v18
	s_nop 0
	v_add_u32_e32 v21, -1, v20
	v_fma_f32 v22, -v21, v20, v18
	v_cmp_ge_f32_e64 s[0:1], 0, v22
	v_add_u32_e32 v22, 1, v20
	s_nop 0
	v_cndmask_b32_e64 v21, v20, v21, s[0:1]
	v_fma_f32 v20, -v22, v20, v18
	v_cmp_lt_f32_e64 s[0:1], 0, v20
	s_nop 1
	v_cndmask_b32_e64 v20, v21, v22, s[0:1]
	v_mul_f32_e32 v21, 0x37800000, v20
	v_cndmask_b32_e32 v20, v20, v21, vcc
	v_cmp_class_f32_e32 vcc, v18, v1
	s_nop 1
	v_cndmask_b32_e32 v18, v20, v18, vcc
	v_mul_f32_e32 v20, v19, v18
.LBB7_13:                               ;   in Loop: Header=BB7_4 Depth=1
	s_or_b64 exec, exec, s[20:21]
                                        ; implicit-def: $vgpr18
                                        ; implicit-def: $vgpr19
.LBB7_14:                               ;   in Loop: Header=BB7_4 Depth=1
	s_andn2_saveexec_b64 s[18:19], s[18:19]
	s_cbranch_execz .LBB7_16
; %bb.15:                               ;   in Loop: Header=BB7_4 Depth=1
	v_div_scale_f32 v20, s[0:1], v18, v18, v19
	v_rcp_f32_e32 v21, v20
	v_div_scale_f32 v22, vcc, v19, v18, v19
	v_fma_f32 v23, -v20, v21, 1.0
	v_fmac_f32_e32 v21, v23, v21
	v_mul_f32_e32 v23, v22, v21
	v_fma_f32 v24, -v20, v23, v22
	v_fmac_f32_e32 v23, v24, v21
	v_fma_f32 v20, -v20, v23, v22
	v_div_fmas_f32 v20, v20, v21, v23
	v_div_fixup_f32 v19, v20, v18, v19
	v_fma_f32 v19, v19, v19, 1.0
	v_mul_f32_e32 v20, 0x4f800000, v19
	v_cmp_gt_f32_e32 vcc, s23, v19
	s_nop 1
	v_cndmask_b32_e32 v19, v19, v20, vcc
	v_sqrt_f32_e32 v20, v19
	s_nop 0
	v_add_u32_e32 v21, -1, v20
	v_fma_f32 v22, -v21, v20, v19
	v_cmp_ge_f32_e64 s[0:1], 0, v22
	v_add_u32_e32 v22, 1, v20
	s_nop 0
	v_cndmask_b32_e64 v21, v20, v21, s[0:1]
	v_fma_f32 v20, -v22, v20, v19
	v_cmp_lt_f32_e64 s[0:1], 0, v20
	s_nop 1
	v_cndmask_b32_e64 v20, v21, v22, s[0:1]
	v_mul_f32_e32 v21, 0x37800000, v20
	v_cndmask_b32_e32 v20, v20, v21, vcc
	v_cmp_class_f32_e32 vcc, v19, v1
	s_nop 1
	v_cndmask_b32_e32 v19, v20, v19, vcc
	v_mul_f32_e32 v20, v18, v19
.LBB7_16:                               ;   in Loop: Header=BB7_4 Depth=1
	s_or_b64 exec, exec, s[18:19]
	v_lshlrev_b64 v[24:25], 3, v[6:7]
	s_mul_i32 s0, s24, s13
	s_add_i32 s20, s24, 1
	v_cmp_nlt_f32_e32 vcc, v3, v20
	v_lshl_add_u64 v[20:21], s[4:5], 0, v[24:25]
	v_lshl_add_u64 v[18:19], s[6:7], 0, v[24:25]
	v_add_u32_e32 v22, s0, v2
                                        ; implicit-def: $vgpr3
	s_and_saveexec_b64 s[18:19], vcc
	s_xor_b64 s[18:19], exec, s[18:19]
	s_cbranch_execz .LBB7_18
; %bb.17:                               ;   in Loop: Header=BB7_4 Depth=1
	v_lshl_add_u64 v[14:15], v[16:17], 3, s[6:7]
	global_load_dwordx2 v[14:15], v[14:15], off
	v_ashrrev_i32_e32 v23, 31, v22
	v_lshl_add_u64 v[16:17], v[22:23], 3, s[8:9]
	global_load_dwordx2 v[22:23], v[16:17], off
	global_load_dwordx2 v[24:25], v[20:21], off
	;; [unrolled: 1-line block ×3, first 2 shown]
	s_mul_i32 s24, s20, s13
	v_mul_f32_e32 v3, v11, v11
	s_ashr_i32 s25, s24, 31
	v_fmac_f32_e32 v3, v10, v10
	v_lshl_add_u64 v[28:29], s[24:25], 2, v[4:5]
	v_div_scale_f32 v30, s[24:25], v3, v3, 1.0
	v_rcp_f32_e32 v31, v30
	v_xor_b32_e32 v17, 0x80000000, v12
	v_mov_b32_e32 v16, v13
	v_pk_mul_f32 v[16:17], v[10:11], v[16:17] op_sel:[1,0]
	v_div_scale_f32 v32, vcc, 1.0, v3, 1.0
	v_pk_fma_f32 v[10:11], v[12:13], v[10:11], v[16:17] op_sel_hi:[1,0,1]
	v_fma_f32 v12, -v30, v31, 1.0
	v_fmac_f32_e32 v31, v12, v31
	v_mul_f32_e32 v12, v32, v31
	v_fma_f32 v13, -v30, v12, v32
	v_fmac_f32_e32 v12, v13, v31
	v_fma_f32 v13, -v30, v12, v32
	v_div_fmas_f32 v12, v13, v31, v12
	v_div_fixup_f32 v12, v12, v3, 1.0
	v_pk_mul_f32 v[10:11], v[10:11], v[12:13] op_sel_hi:[1,0]
	global_store_dwordx2 v[8:9], v[10:11], off
	v_xor_b32_e32 v8, 0x80000000, v11
	v_mov_b32_e32 v9, v10
	v_mov_b32_e32 v33, s20
	global_store_dword v[28:29], v33, off
                                        ; implicit-def: $vgpr16_vgpr17
	s_waitcnt vmcnt(5)
	v_pk_mul_f32 v[8:9], v[14:15], v[8:9] op_sel:[1,0]
	s_nop 0
	v_pk_fma_f32 v[8:9], v[10:11], v[14:15], v[8:9] op_sel_hi:[1,0,1]
	s_waitcnt vmcnt(4)
	v_mul_f32_e64 v3, v23, -v11
	v_mul_f32_e32 v12, v10, v23
	s_waitcnt vmcnt(3)
	v_pk_add_f32 v[8:9], v[24:25], v[8:9] neg_lo:[0,1] neg_hi:[0,1]
	v_fmac_f32_e32 v3, v10, v22
	v_fmac_f32_e32 v12, v11, v22
	global_store_dwordx2 v[20:21], v[8:9], off
	s_waitcnt vmcnt(3)
	v_sub_f32_e32 v8, v26, v3
	v_sub_f32_e32 v3, v27, v12
	global_store_dword v[18:19], v8, off
                                        ; implicit-def: $vgpr8_vgpr9
                                        ; implicit-def: $vgpr12_vgpr13
                                        ; implicit-def: $vgpr14_vgpr15
                                        ; implicit-def: $vgpr10_vgpr11
                                        ; implicit-def: $vgpr24_vgpr25
                                        ; implicit-def: $vgpr20_vgpr21
                                        ; implicit-def: $vgpr18_vgpr19
                                        ; implicit-def: $vgpr22
.LBB7_18:                               ;   in Loop: Header=BB7_4 Depth=1
	s_andn2_saveexec_b64 s[18:19], s[18:19]
	s_cbranch_execz .LBB7_3
; %bb.19:                               ;   in Loop: Header=BB7_4 Depth=1
	v_ashrrev_i32_e32 v23, 31, v22
	global_load_dwordx2 v[26:27], v[20:21], off
	v_lshl_add_u64 v[28:29], v[22:23], 3, s[8:9]
	global_load_dwordx2 v[30:31], v[28:29], off
	v_lshlrev_b64 v[16:17], 3, v[16:17]
	s_ashr_i32 s1, s0, 31
	v_lshl_add_u64 v[34:35], s[6:7], 0, v[16:17]
	v_lshl_add_u64 v[36:37], s[0:1], 2, v[4:5]
	global_load_dwordx2 v[32:33], v[18:19], off
	v_lshl_add_u64 v[24:25], s[2:3], 0, v[24:25]
	v_lshl_add_u64 v[16:17], s[2:3], 0, v[16:17]
	global_load_dword v3, v[36:37], off
	global_load_dwordx2 v[38:39], v[16:17], off
	global_load_dwordx2 v[40:41], v[24:25], off
	;; [unrolled: 1-line block ×3, first 2 shown]
	v_xor_b32_e32 v23, 0x80000000, v10
	s_waitcnt vmcnt(6)
	global_store_dwordx2 v[34:35], v[26:27], off
	s_waitcnt vmcnt(6)
	global_store_dwordx2 v[18:19], v[30:31], off
	global_load_dwordx2 v[26:27], v[34:35], off
	v_mul_f32_e32 v34, v13, v13
	v_mov_b32_e32 v35, s20
	v_fmac_f32_e32 v34, v12, v12
	global_store_dword v[36:37], v35, off
	v_div_scale_f32 v35, s[0:1], v34, v34, 1.0
	v_rcp_f32_e32 v36, v35
	global_store_dwordx2 v[14:15], v[12:13], off
	v_add_u32_e32 v14, s13, v22
	v_mov_b32_e32 v22, v11
	v_pk_mul_f32 v[22:23], v[22:23], v[12:13] op_sel:[0,1]
	v_div_scale_f32 v37, vcc, 1.0, v34, 1.0
	v_pk_fma_f32 v[10:11], v[10:11], v[12:13], v[22:23] op_sel_hi:[1,0,1]
	v_fma_f32 v12, -v35, v36, 1.0
	v_fmac_f32_e32 v36, v12, v36
	v_mul_f32_e32 v12, v37, v36
	v_fma_f32 v13, -v35, v12, v37
	v_fmac_f32_e32 v12, v13, v36
	v_fma_f32 v13, -v35, v12, v37
	v_div_fmas_f32 v12, v13, v36, v12
	v_div_fixup_f32 v12, v12, v34, 1.0
	v_pk_mul_f32 v[10:11], v[12:13], v[10:11] op_sel_hi:[0,1]
	global_store_dwordx2 v[8:9], v[10:11], off
	v_xor_b32_e32 v8, 0x80000000, v11
	v_mov_b32_e32 v9, v10
	v_ashrrev_i32_e32 v15, 31, v14
	s_waitcnt vmcnt(10)
	v_mul_f32_e32 v13, v10, v33
	v_lshl_add_u64 v[14:15], v[14:15], 2, s[10:11]
	v_mul_f32_e64 v12, v33, -v11
	v_fmac_f32_e32 v13, v11, v32
	global_store_dwordx2 v[28:29], v[32:33], off
	v_fmac_f32_e32 v12, v10, v32
	s_waitcnt vmcnt(10)
	global_store_dword v[14:15], v3, off
	s_waitcnt vmcnt(9)
	global_store_dwordx2 v[16:17], v[40:41], off
	global_store_dwordx2 v[24:25], v[38:39], off
	v_sub_f32_e32 v3, v31, v13
	v_sub_f32_e32 v12, v30, v12
	s_waitcnt vmcnt(7)
	v_pk_mul_f32 v[8:9], v[26:27], v[8:9] op_sel:[1,0]
	s_nop 0
	v_pk_fma_f32 v[8:9], v[10:11], v[26:27], v[8:9] op_sel_hi:[1,0,1]
	s_nop 0
	v_pk_add_f32 v[8:9], v[42:43], v[8:9] neg_lo:[0,1] neg_hi:[0,1]
	global_store_dwordx2 v[20:21], v[8:9], off
	global_store_dword v[18:19], v12, off
	s_branch .LBB7_3
.LBB7_20:
	s_mov_b32 s20, 1
	v_mov_b32_e32 v1, 0
	s_branch .LBB7_23
.LBB7_21:                               ;   in Loop: Header=BB7_23 Depth=1
	s_or_b64 exec, exec, s[10:11]
	s_mul_i32 s10, s20, s14
	v_add_u32_e32 v8, s10, v2
	v_ashrrev_i32_e32 v9, 31, v8
	v_lshl_add_u64 v[8:9], v[8:9], 3, s[2:3]
	global_load_dwordx2 v[10:11], v[8:9], off
	v_mov_b32_e32 v1, s20
	s_waitcnt vmcnt(0)
	v_pk_add_f32 v[6:7], v[6:7], v[10:11]
	global_store_dwordx2 v[8:9], v[6:7], off
.LBB7_22:                               ;   in Loop: Header=BB7_23 Depth=1
	s_or_b64 exec, exec, s[0:1]
	s_add_i32 s20, s20, 1
	s_cmp_eq_u32 s20, s12
	s_cbranch_scc1 .LBB7_28
.LBB7_23:                               ; =>This Loop Header: Depth=1
                                        ;     Child Loop BB7_26 Depth 2
	s_mul_i32 s0, s20, s13
	s_ashr_i32 s1, s0, 31
	v_lshl_add_u64 v[6:7], s[0:1], 2, v[4:5]
	global_load_dword v3, v[6:7], off
	s_waitcnt vmcnt(0)
	v_cmp_ge_i32_e32 vcc, s20, v3
	s_and_saveexec_b64 s[0:1], vcc
	s_cbranch_execz .LBB7_22
; %bb.24:                               ;   in Loop: Header=BB7_23 Depth=1
	v_mov_b32_e32 v7, 0
	v_cmp_gt_u32_e32 vcc, s20, v1
	v_mov_b32_e32 v6, v7
	s_and_saveexec_b64 s[10:11], vcc
	s_cbranch_execz .LBB7_21
; %bb.25:                               ;   in Loop: Header=BB7_23 Depth=1
	v_mul_lo_u32 v3, s14, v1
	v_mov_b32_e32 v6, 0
	v_add_u32_e32 v8, s14, v3
	s_mov_b64 s[18:19], 0
	v_mov_b32_e32 v9, v2
	v_mov_b32_e32 v7, v6
.LBB7_26:                               ;   Parent Loop BB7_23 Depth=1
                                        ; =>  This Inner Loop Header: Depth=2
	v_add_u32_e32 v10, v8, v9
	v_add_u32_e32 v12, v3, v9
	v_ashrrev_i32_e32 v11, 31, v10
	v_ashrrev_i32_e32 v13, 31, v12
	v_lshl_add_u64 v[10:11], v[10:11], 3, s[16:17]
	v_lshl_add_u64 v[12:13], v[12:13], 3, s[2:3]
	global_load_dwordx2 v[14:15], v[10:11], off
	global_load_dwordx2 v[16:17], v[12:13], off
	v_add_u32_e32 v1, 1, v1
	v_cmp_le_u32_e32 vcc, s20, v1
	v_add_u32_e32 v9, s14, v9
	s_or_b64 s[18:19], vcc, s[18:19]
	s_waitcnt vmcnt(1)
	v_xor_b32_e32 v10, 0x80000000, v15
	v_mov_b32_e32 v11, v14
	s_waitcnt vmcnt(0)
	v_pk_mul_f32 v[10:11], v[16:17], v[10:11] op_sel:[1,0]
	s_nop 0
	v_pk_fma_f32 v[10:11], v[14:15], v[16:17], v[10:11] op_sel_hi:[1,0,1]
	s_nop 0
	v_pk_add_f32 v[6:7], v[6:7], v[10:11] neg_lo:[0,1] neg_hi:[0,1]
	s_andn2_b64 exec, exec, s[18:19]
	s_cbranch_execnz .LBB7_26
; %bb.27:                               ;   in Loop: Header=BB7_23 Depth=1
	s_or_b64 exec, exec, s[18:19]
	s_branch .LBB7_21
.LBB7_28:
	s_mul_i32 s0, s14, s22
	v_add_u32_e32 v4, s0, v2
	v_ashrrev_i32_e32 v5, 31, v4
	v_lshlrev_b64 v[4:5], 3, v[4:5]
	v_lshl_add_u64 v[6:7], s[2:3], 0, v[4:5]
	v_lshl_add_u64 v[4:5], s[4:5], 0, v[4:5]
	global_load_dwordx2 v[8:9], v[4:5], off
	global_load_dwordx2 v[10:11], v[6:7], off
	s_sub_i32 s1, s0, s14
	v_add_u32_e32 v4, s1, v2
	v_ashrrev_i32_e32 v5, 31, v4
	v_lshlrev_b64 v[4:5], 3, v[4:5]
	v_lshl_add_u64 v[14:15], s[6:7], 0, v[4:5]
	v_lshl_add_u64 v[12:13], s[2:3], 0, v[4:5]
	;; [unrolled: 1-line block ×3, first 2 shown]
	global_load_dwordx2 v[16:17], v[14:15], off
	global_load_dwordx2 v[18:19], v[4:5], off
	s_cmp_lt_i32 s12, 3
	s_waitcnt vmcnt(3)
	v_mul_f32_e32 v1, v9, v9
	v_fmac_f32_e32 v1, v8, v8
	v_div_scale_f32 v3, s[10:11], v1, v1, 1.0
	v_rcp_f32_e32 v14, v3
	s_waitcnt vmcnt(2)
	v_pk_mul_f32 v[4:5], v[8:9], v[10:11] op_sel:[1,1] op_sel_hi:[1,0] neg_hi:[0,1]
	s_nop 0
	v_pk_fma_f32 v[4:5], v[10:11], v[8:9], v[4:5] op_sel_hi:[1,0,1]
	v_fma_f32 v9, -v3, v14, 1.0
	v_div_scale_f32 v8, vcc, 1.0, v1, 1.0
	v_fmac_f32_e32 v14, v9, v14
	v_mul_f32_e32 v9, v8, v14
	v_fma_f32 v10, -v3, v9, v8
	v_fmac_f32_e32 v9, v10, v14
	v_fma_f32 v3, -v3, v9, v8
	v_div_fmas_f32 v3, v3, v14, v9
	v_div_fixup_f32 v8, v3, v1, 1.0
	v_pk_mul_f32 v[4:5], v[8:9], v[4:5] op_sel_hi:[0,1]
	global_store_dwordx2 v[6:7], v[4:5], off
	global_load_dwordx2 v[6:7], v[12:13], off
	s_waitcnt vmcnt(2)
	v_mul_f32_e32 v1, v19, v19
	v_fmac_f32_e32 v1, v18, v18
	v_div_scale_f32 v3, s[10:11], v1, v1, 1.0
	v_rcp_f32_e32 v10, v3
	v_xor_b32_e32 v8, 0x80000000, v17
	v_mov_b32_e32 v9, v16
	v_div_scale_f32 v11, vcc, 1.0, v1, 1.0
	v_fma_f32 v14, -v3, v10, 1.0
	v_fmac_f32_e32 v10, v14, v10
	v_mul_f32_e32 v14, v11, v10
	v_pk_mul_f32 v[8:9], v[4:5], v[8:9] op_sel:[1,0]
	v_fma_f32 v15, -v3, v14, v11
	v_pk_fma_f32 v[4:5], v[16:17], v[4:5], v[8:9] op_sel_hi:[1,0,1]
	v_fmac_f32_e32 v14, v15, v10
	v_fma_f32 v3, -v3, v14, v11
	v_div_fmas_f32 v3, v3, v10, v14
	v_div_fixup_f32 v10, v3, v1, 1.0
	s_waitcnt vmcnt(0)
	v_pk_add_f32 v[4:5], v[6:7], v[4:5] neg_lo:[0,1] neg_hi:[0,1]
	s_nop 0
	v_xor_b32_e32 v7, 0x80000000, v4
	v_mov_b32_e32 v6, v5
	v_pk_mul_f32 v[6:7], v[18:19], v[6:7] op_sel:[1,0]
	s_nop 0
	v_pk_fma_f32 v[4:5], v[4:5], v[18:19], v[6:7] op_sel_hi:[1,0,1]
	s_nop 0
	v_pk_mul_f32 v[4:5], v[10:11], v[4:5] op_sel_hi:[0,1]
	global_store_dwordx2 v[12:13], v[4:5], off
	s_cbranch_scc1 .LBB7_31
; %bb.29:
	s_add_i32 s11, s12, -3
	s_mul_i32 s10, s13, s11
	s_add_i32 s1, s12, -2
	s_add_i32 s15, s15, s10
	v_add_u32_e32 v0, s15, v0
	s_mul_i32 s10, s14, s1
	s_mul_i32 s11, s14, s11
.LBB7_30:                               ; =>This Inner Loop Header: Depth=1
	v_add_u32_e32 v4, s11, v2
	v_add_u32_e32 v6, s10, v2
	v_ashrrev_i32_e32 v1, 31, v0
	v_add_u32_e32 v8, s0, v2
	v_ashrrev_i32_e32 v5, 31, v4
	v_ashrrev_i32_e32 v7, 31, v6
	v_lshl_add_u64 v[10:11], v[0:1], 3, s[8:9]
	v_ashrrev_i32_e32 v9, 31, v8
	v_lshlrev_b64 v[4:5], 3, v[4:5]
	v_lshl_add_u64 v[6:7], v[6:7], 3, s[2:3]
	global_load_dwordx2 v[10:11], v[10:11], off
	v_lshl_add_u64 v[8:9], v[8:9], 3, s[2:3]
	v_lshl_add_u64 v[12:13], s[2:3], 0, v[4:5]
	v_lshl_add_u64 v[14:15], s[6:7], 0, v[4:5]
	global_load_dwordx2 v[16:17], v[6:7], off
	global_load_dwordx2 v[18:19], v[8:9], off
	v_lshl_add_u64 v[4:5], s[4:5], 0, v[4:5]
	global_load_dwordx2 v[6:7], v[4:5], off
	global_load_dwordx2 v[8:9], v[14:15], off
	;; [unrolled: 1-line block ×3, first 2 shown]
	s_add_i32 s1, s1, -1
	v_subrev_u32_e32 v2, s14, v2
	v_subrev_u32_e32 v0, s13, v0
	s_cmp_lg_u32 s1, 0
	s_waitcnt vmcnt(5)
	v_xor_b32_e32 v4, 0x80000000, v11
	v_mov_b32_e32 v5, v10
	s_waitcnt vmcnt(2)
	v_mul_f32_e32 v1, v7, v7
	v_pk_mul_f32 v[4:5], v[18:19], v[4:5] op_sel:[1,0]
	s_waitcnt vmcnt(1)
	v_xor_b32_e32 v14, 0x80000000, v9
	v_mov_b32_e32 v15, v8
	v_fmac_f32_e32 v1, v6, v6
	v_pk_fma_f32 v[4:5], v[10:11], v[18:19], v[4:5] op_sel_hi:[1,0,1]
	v_pk_mul_f32 v[10:11], v[16:17], v[14:15] op_sel:[1,0]
	v_div_scale_f32 v3, s[16:17], v1, v1, 1.0
	v_pk_fma_f32 v[8:9], v[8:9], v[16:17], v[10:11] op_sel_hi:[1,0,1]
	v_rcp_f32_e32 v10, v3
	s_waitcnt vmcnt(0)
	v_pk_add_f32 v[8:9], v[20:21], v[8:9] neg_lo:[0,1] neg_hi:[0,1]
	v_div_scale_f32 v14, vcc, 1.0, v1, 1.0
	v_pk_add_f32 v[4:5], v[8:9], v[4:5] neg_lo:[0,1] neg_hi:[0,1]
	v_fma_f32 v11, -v3, v10, 1.0
	v_xor_b32_e32 v9, 0x80000000, v4
	v_mov_b32_e32 v8, v5
	v_pk_mul_f32 v[8:9], v[6:7], v[8:9] op_sel:[1,0]
	v_fmac_f32_e32 v10, v11, v10
	v_pk_fma_f32 v[4:5], v[4:5], v[6:7], v[8:9] op_sel_hi:[1,0,1]
	v_mul_f32_e32 v6, v14, v10
	v_fma_f32 v7, -v3, v6, v14
	v_fmac_f32_e32 v6, v7, v10
	v_fma_f32 v3, -v3, v6, v14
	v_div_fmas_f32 v3, v3, v10, v6
	v_div_fixup_f32 v6, v3, v1, 1.0
	v_pk_mul_f32 v[4:5], v[6:7], v[4:5] op_sel_hi:[0,1]
	global_store_dwordx2 v[12:13], v[4:5], off
	s_cbranch_scc1 .LBB7_30
.LBB7_31:
	s_endpgm
	.section	.rodata,"a",@progbits
	.p2align	6, 0x0
	.amdhsa_kernel _ZN9rocsparseL32gtsv_interleaved_batch_lu_kernelILj128E21rocsparse_complex_numIfEEEviiiPT0_S4_S4_S4_PiS4_
		.amdhsa_group_segment_fixed_size 0
		.amdhsa_private_segment_fixed_size 0
		.amdhsa_kernarg_size 64
		.amdhsa_user_sgpr_count 2
		.amdhsa_user_sgpr_dispatch_ptr 0
		.amdhsa_user_sgpr_queue_ptr 0
		.amdhsa_user_sgpr_kernarg_segment_ptr 1
		.amdhsa_user_sgpr_dispatch_id 0
		.amdhsa_user_sgpr_kernarg_preload_length 0
		.amdhsa_user_sgpr_kernarg_preload_offset 0
		.amdhsa_user_sgpr_private_segment_size 0
		.amdhsa_uses_dynamic_stack 0
		.amdhsa_enable_private_segment 0
		.amdhsa_system_sgpr_workgroup_id_x 1
		.amdhsa_system_sgpr_workgroup_id_y 0
		.amdhsa_system_sgpr_workgroup_id_z 0
		.amdhsa_system_sgpr_workgroup_info 0
		.amdhsa_system_vgpr_workitem_id 0
		.amdhsa_next_free_vgpr 44
		.amdhsa_next_free_sgpr 26
		.amdhsa_accum_offset 44
		.amdhsa_reserve_vcc 1
		.amdhsa_float_round_mode_32 0
		.amdhsa_float_round_mode_16_64 0
		.amdhsa_float_denorm_mode_32 3
		.amdhsa_float_denorm_mode_16_64 3
		.amdhsa_dx10_clamp 1
		.amdhsa_ieee_mode 1
		.amdhsa_fp16_overflow 0
		.amdhsa_tg_split 0
		.amdhsa_exception_fp_ieee_invalid_op 0
		.amdhsa_exception_fp_denorm_src 0
		.amdhsa_exception_fp_ieee_div_zero 0
		.amdhsa_exception_fp_ieee_overflow 0
		.amdhsa_exception_fp_ieee_underflow 0
		.amdhsa_exception_fp_ieee_inexact 0
		.amdhsa_exception_int_div_zero 0
	.end_amdhsa_kernel
	.section	.text._ZN9rocsparseL32gtsv_interleaved_batch_lu_kernelILj128E21rocsparse_complex_numIfEEEviiiPT0_S4_S4_S4_PiS4_,"axG",@progbits,_ZN9rocsparseL32gtsv_interleaved_batch_lu_kernelILj128E21rocsparse_complex_numIfEEEviiiPT0_S4_S4_S4_PiS4_,comdat
.Lfunc_end7:
	.size	_ZN9rocsparseL32gtsv_interleaved_batch_lu_kernelILj128E21rocsparse_complex_numIfEEEviiiPT0_S4_S4_S4_PiS4_, .Lfunc_end7-_ZN9rocsparseL32gtsv_interleaved_batch_lu_kernelILj128E21rocsparse_complex_numIfEEEviiiPT0_S4_S4_S4_PiS4_
                                        ; -- End function
	.set _ZN9rocsparseL32gtsv_interleaved_batch_lu_kernelILj128E21rocsparse_complex_numIfEEEviiiPT0_S4_S4_S4_PiS4_.num_vgpr, 44
	.set _ZN9rocsparseL32gtsv_interleaved_batch_lu_kernelILj128E21rocsparse_complex_numIfEEEviiiPT0_S4_S4_S4_PiS4_.num_agpr, 0
	.set _ZN9rocsparseL32gtsv_interleaved_batch_lu_kernelILj128E21rocsparse_complex_numIfEEEviiiPT0_S4_S4_S4_PiS4_.numbered_sgpr, 26
	.set _ZN9rocsparseL32gtsv_interleaved_batch_lu_kernelILj128E21rocsparse_complex_numIfEEEviiiPT0_S4_S4_S4_PiS4_.num_named_barrier, 0
	.set _ZN9rocsparseL32gtsv_interleaved_batch_lu_kernelILj128E21rocsparse_complex_numIfEEEviiiPT0_S4_S4_S4_PiS4_.private_seg_size, 0
	.set _ZN9rocsparseL32gtsv_interleaved_batch_lu_kernelILj128E21rocsparse_complex_numIfEEEviiiPT0_S4_S4_S4_PiS4_.uses_vcc, 1
	.set _ZN9rocsparseL32gtsv_interleaved_batch_lu_kernelILj128E21rocsparse_complex_numIfEEEviiiPT0_S4_S4_S4_PiS4_.uses_flat_scratch, 0
	.set _ZN9rocsparseL32gtsv_interleaved_batch_lu_kernelILj128E21rocsparse_complex_numIfEEEviiiPT0_S4_S4_S4_PiS4_.has_dyn_sized_stack, 0
	.set _ZN9rocsparseL32gtsv_interleaved_batch_lu_kernelILj128E21rocsparse_complex_numIfEEEviiiPT0_S4_S4_S4_PiS4_.has_recursion, 0
	.set _ZN9rocsparseL32gtsv_interleaved_batch_lu_kernelILj128E21rocsparse_complex_numIfEEEviiiPT0_S4_S4_S4_PiS4_.has_indirect_call, 0
	.section	.AMDGPU.csdata,"",@progbits
; Kernel info:
; codeLenInByte = 3116
; TotalNumSgprs: 32
; NumVgprs: 44
; NumAgprs: 0
; TotalNumVgprs: 44
; ScratchSize: 0
; MemoryBound: 0
; FloatMode: 240
; IeeeMode: 1
; LDSByteSize: 0 bytes/workgroup (compile time only)
; SGPRBlocks: 3
; VGPRBlocks: 5
; NumSGPRsForWavesPerEU: 32
; NumVGPRsForWavesPerEU: 44
; AccumOffset: 44
; Occupancy: 8
; WaveLimiterHint : 0
; COMPUTE_PGM_RSRC2:SCRATCH_EN: 0
; COMPUTE_PGM_RSRC2:USER_SGPR: 2
; COMPUTE_PGM_RSRC2:TRAP_HANDLER: 0
; COMPUTE_PGM_RSRC2:TGID_X_EN: 1
; COMPUTE_PGM_RSRC2:TGID_Y_EN: 0
; COMPUTE_PGM_RSRC2:TGID_Z_EN: 0
; COMPUTE_PGM_RSRC2:TIDIG_COMP_CNT: 0
; COMPUTE_PGM_RSRC3_GFX90A:ACCUM_OFFSET: 10
; COMPUTE_PGM_RSRC3_GFX90A:TG_SPLIT: 0
	.section	.text._ZN9rocsparseL32gtsv_interleaved_batch_qr_kernelILj128E21rocsparse_complex_numIfEEEviiiPKT0_PS3_S6_S6_S6_,"axG",@progbits,_ZN9rocsparseL32gtsv_interleaved_batch_qr_kernelILj128E21rocsparse_complex_numIfEEEviiiPKT0_PS3_S6_S6_S6_,comdat
	.globl	_ZN9rocsparseL32gtsv_interleaved_batch_qr_kernelILj128E21rocsparse_complex_numIfEEEviiiPKT0_PS3_S6_S6_S6_ ; -- Begin function _ZN9rocsparseL32gtsv_interleaved_batch_qr_kernelILj128E21rocsparse_complex_numIfEEEviiiPKT0_PS3_S6_S6_S6_
	.p2align	8
	.type	_ZN9rocsparseL32gtsv_interleaved_batch_qr_kernelILj128E21rocsparse_complex_numIfEEEviiiPKT0_PS3_S6_S6_S6_,@function
_ZN9rocsparseL32gtsv_interleaved_batch_qr_kernelILj128E21rocsparse_complex_numIfEEEviiiPKT0_PS3_S6_S6_S6_: ; @_ZN9rocsparseL32gtsv_interleaved_batch_qr_kernelILj128E21rocsparse_complex_numIfEEEviiiPKT0_PS3_S6_S6_S6_
; %bb.0:
	s_load_dwordx4 s[12:15], s[0:1], 0x0
	s_waitcnt lgkmcnt(0)
	s_lshl_b32 s15, s2, 7
	v_or_b32_e32 v2, s15, v0
	v_cmp_gt_i32_e32 vcc, s13, v2
	s_and_saveexec_b64 s[2:3], vcc
	s_cbranch_execz .LBB8_13
; %bb.1:
	s_load_dwordx8 s[4:11], s[0:1], 0x18
	s_add_i32 s20, s12, -1
	s_cmp_lt_i32 s12, 2
	s_cbranch_scc1 .LBB8_10
; %bb.2:
	v_ashrrev_i32_e32 v3, 31, v2
	v_lshlrev_b64 v[4:5], 3, v[2:3]
	s_waitcnt lgkmcnt(0)
	v_lshl_add_u64 v[6:7], s[4:5], 0, v[4:5]
	v_lshl_add_u64 v[4:5], s[6:7], 0, v[4:5]
	global_load_dwordx2 v[6:7], v[6:7], off
	s_load_dwordx2 s[2:3], s[0:1], 0x10
	global_load_dwordx2 v[4:5], v[4:5], off
	s_mov_b32 s21, 0xf800000
	v_mov_b32_e32 v1, 0x260
	v_mov_b32_e32 v24, v2
	s_mov_b32 s22, s20
	v_mov_b32_e32 v8, v2
	s_branch .LBB8_4
.LBB8_3:                                ;   in Loop: Header=BB8_4 Depth=1
	s_or_b64 exec, exec, s[16:17]
	v_ashrrev_i32_e32 v25, 31, v24
	v_lshlrev_b64 v[24:25], 3, v[24:25]
	v_mul_f32_e32 v3, 0x4f800000, v26
	v_cmp_gt_f32_e32 vcc, s21, v26
	v_lshl_add_u64 v[28:29], v[10:11], 3, s[10:11]
	v_pk_add_f32 v[22:23], v[22:23], 0 neg_lo:[1,1] neg_hi:[1,1]
	v_cndmask_b32_e32 v3, v26, v3, vcc
	v_lshl_add_u64 v[26:27], s[10:11], 0, v[24:25]
	global_load_dwordx2 v[30:31], v[28:29], off
	global_load_dwordx2 v[32:33], v[26:27], off
	v_sqrt_f32_e32 v9, v3
	v_mov_b32_e32 v46, v22
	v_mov_b32_e32 v47, v20
	v_pk_mov_b32 v[36:37], v[4:5], v[4:5] op_sel:[1,0]
	v_add_u32_e32 v11, -1, v9
	v_fma_f32 v34, -v11, v9, v3
	v_cmp_ge_f32_e64 s[0:1], 0, v34
	v_add_u32_e32 v34, 1, v9
	s_add_i32 s22, s22, -1
	v_cndmask_b32_e64 v11, v9, v11, s[0:1]
	v_fma_f32 v9, -v34, v9, v3
	v_cmp_lt_f32_e64 s[0:1], 0, v9
	s_cmp_eq_u32 s22, 0
	s_nop 0
	v_cndmask_b32_e64 v9, v11, v34, s[0:1]
	v_mul_f32_e32 v11, 0x37800000, v9
	v_cndmask_b32_e32 v9, v9, v11, vcc
	v_cmp_class_f32_e32 vcc, v3, v1
	v_lshl_add_u64 v[34:35], s[4:5], 0, v[24:25]
	v_lshl_add_u64 v[24:25], s[6:7], 0, v[24:25]
	v_cndmask_b32_e32 v3, v9, v3, vcc
	v_fma_f32 v9, v3, v3, 0
	v_div_scale_f32 v11, s[0:1], v9, v9, 1.0
	v_rcp_f32_e32 v38, v11
	s_nop 0
	v_fma_f32 v39, -v11, v38, 1.0
	v_fmac_f32_e32 v38, v39, v38
	v_div_scale_f32 v39, vcc, 1.0, v9, 1.0
	v_mul_f32_e32 v40, v39, v38
	v_fma_f32 v41, -v11, v40, v39
	v_fmac_f32_e32 v40, v41, v38
	v_fma_f32 v11, -v11, v40, v39
	v_div_fmas_f32 v11, v11, v38, v40
	v_div_fixup_f32 v9, v11, v9, 1.0
	v_mul_f32_e32 v11, 0x80000000, v7
	v_fmac_f32_e32 v11, v6, v3
	v_mul_f32_e32 v38, v11, v9
	v_mul_f32_e32 v11, 0x80000000, v6
	v_fma_f32 v11, -v7, v3, v11
	v_mul_f32_e32 v40, v11, v9
	v_mul_f32_e32 v11, 0x80000000, v21
	v_fmac_f32_e32 v11, v20, v3
	v_mul_f32_e32 v42, v11, v9
	v_mul_f32_e32 v11, 0x80000000, v20
	v_fma_f32 v3, -v21, v3, v11
	v_mul_f32_e32 v44, v3, v9
	v_pk_mul_f32 v[46:47], v[44:45], v[46:47] op_sel_hi:[0,1]
	v_pk_fma_f32 v[20:21], v[20:21], v[42:43], v[46:47] op_sel_hi:[1,0,1]
	v_ashrrev_i32_e32 v9, 31, v8
	v_pk_fma_f32 v[20:21], v[6:7], v[38:39], v[20:21] op_sel_hi:[1,0,1]
	v_pk_mov_b32 v[6:7], v[22:23], v[6:7] op_sel:[1,0]
	s_nop 0
	v_pk_fma_f32 v[6:7], v[6:7], v[40:41], v[20:21] op_sel_hi:[1,0,1]
	global_store_dwordx2 v[34:35], v[6:7], off
	s_waitcnt vmcnt(4)
	v_pk_mul_f32 v[6:7], v[40:41], v[18:19] op_sel_hi:[0,1] neg_lo:[1,0]
	v_pk_fma_f32 v[6:7], v[18:19], v[38:39], v[6:7] op_sel:[0,0,1] op_sel_hi:[1,0,0]
	v_xor_b32_e32 v20, 0x80000000, v19
	v_pk_fma_f32 v[6:7], v[4:5], v[42:43], v[6:7] op_sel_hi:[1,0,1] neg_lo:[1,0,0] neg_hi:[1,0,0]
	v_mov_b32_e32 v21, v18
	v_pk_fma_f32 v[6:7], v[4:5], v[44:45], v[6:7] op_sel:[1,0,0] op_sel_hi:[0,0,1] neg_lo:[0,1,0]
	global_store_dwordx2 v[16:17], v[6:7], off
	v_pk_mul_f32 v[16:17], v[44:45], v[20:21] op_sel_hi:[0,1]
	v_pk_fma_f32 v[16:17], v[18:19], v[42:43], v[16:17] op_sel_hi:[1,0,1]
	v_pk_add_f32 v[18:19], v[36:37], 0 neg_lo:[1,1] neg_hi:[1,1]
	v_pk_fma_f32 v[16:17], v[4:5], v[38:39], v[16:17] op_sel_hi:[1,0,1]
	v_mov_b32_e32 v19, v4
	v_pk_fma_f32 v[4:5], v[18:19], v[40:41], v[16:17] op_sel_hi:[1,0,1]
	global_store_dwordx2 v[24:25], v[4:5], off
	s_waitcnt vmcnt(5)
	v_xor_b32_e32 v16, 0x80000000, v13
	v_pk_mul_f32 v[4:5], v[40:41], v[12:13] op_sel_hi:[0,1] neg_lo:[1,0]
	v_mov_b32_e32 v17, v12
	v_pk_fma_f32 v[4:5], v[12:13], v[38:39], v[4:5] op_sel:[0,0,1] op_sel_hi:[1,0,0]
	v_pk_mul_f32 v[16:17], v[44:45], v[16:17] op_sel_hi:[0,1]
	global_store_dwordx2 v[14:15], v[4:5], off
	v_lshl_add_u64 v[14:15], v[8:9], 3, s[8:9]
	v_pk_fma_f32 v[12:13], v[12:13], v[42:43], v[16:17] op_sel_hi:[1,0,1]
	global_store_dwordx2 v[14:15], v[12:13], off
	s_waitcnt vmcnt(5)
	v_pk_mov_b32 v[12:13], v[32:33], v[32:33] op_sel:[1,0]
	v_pk_mul_f32 v[14:15], v[44:45], v[30:31] op_sel:[0,1] op_sel_hi:[0,0] neg_lo:[0,1]
	v_pk_fma_f32 v[14:15], v[30:31], v[42:43], v[14:15] op_sel_hi:[1,0,1]
	v_pk_add_f32 v[12:13], v[12:13], 0 neg_lo:[1,1] neg_hi:[1,1]
	v_pk_fma_f32 v[14:15], v[32:33], v[38:39], v[14:15] op_sel_hi:[1,0,1]
	v_mov_b32_e32 v13, v32
	v_pk_fma_f32 v[12:13], v[12:13], v[40:41], v[14:15] op_sel_hi:[1,0,1]
	global_store_dwordx2 v[26:27], v[12:13], off
	v_pk_mul_f32 v[12:13], v[40:41], v[30:31] op_sel_hi:[0,1] neg_lo:[1,0]
	v_pk_fma_f32 v[12:13], v[30:31], v[38:39], v[12:13] op_sel:[0,0,1] op_sel_hi:[1,0,0]
	v_add_u32_e32 v8, s13, v8
	v_pk_fma_f32 v[12:13], v[32:33], v[42:43], v[12:13] op_sel_hi:[1,0,1] neg_lo:[1,0,0] neg_hi:[1,0,0]
	v_mov_b32_e32 v24, v10
	v_pk_fma_f32 v[12:13], v[32:33], v[44:45], v[12:13] op_sel:[1,0,0] op_sel_hi:[0,0,1] neg_lo:[0,1,0]
	global_store_dwordx2 v[28:29], v[12:13], off
	s_cbranch_scc1 .LBB8_10
.LBB8_4:                                ; =>This Inner Loop Header: Depth=1
	v_add_u32_e32 v10, s14, v24
	v_ashrrev_i32_e32 v11, 31, v10
	v_lshlrev_b64 v[12:13], 3, v[10:11]
	s_waitcnt lgkmcnt(0)
	v_lshl_add_u64 v[14:15], s[2:3], 0, v[12:13]
	global_load_dwordx2 v[20:21], v[14:15], off
	v_lshl_add_u64 v[16:17], s[4:5], 0, v[12:13]
	v_lshl_add_u64 v[14:15], s[6:7], 0, v[12:13]
	global_load_dwordx2 v[18:19], v[16:17], off
	global_load_dwordx2 v[12:13], v[14:15], off
	s_waitcnt vmcnt(4)
	v_mov_b32_e32 v23, v7
	v_mov_b32_e32 v27, v6
	s_waitcnt vmcnt(2)
	v_mov_b32_e32 v22, v21
	v_mov_b32_e32 v26, v20
	v_pk_mul_f32 v[28:29], v[22:23], v[22:23]
	v_pk_mul_f32 v[30:31], v[26:27], v[22:23] neg_lo:[0,1] neg_hi:[0,1]
	v_pk_fma_f32 v[28:29], v[26:27], v[26:27], v[28:29]
	v_pk_fma_f32 v[26:27], v[22:23], v[26:27], v[30:31]
	v_add_f32_e32 v3, v28, v29
	v_add_f32_e32 v25, v26, v27
	v_cmp_gt_f32_e32 vcc, 0, v25
                                        ; implicit-def: $vgpr26
	s_nop 1
	v_cndmask_b32_e64 v9, v25, -v25, vcc
	v_cmp_ngt_f32_e32 vcc, v3, v9
	s_and_saveexec_b64 s[0:1], vcc
	s_xor_b64 s[16:17], exec, s[0:1]
	s_cbranch_execz .LBB8_8
; %bb.5:                                ;   in Loop: Header=BB8_4 Depth=1
	v_mov_b32_e32 v26, 0
	v_cmp_neq_f32_e32 vcc, 0, v25
	s_and_saveexec_b64 s[18:19], vcc
	s_cbranch_execz .LBB8_7
; %bb.6:                                ;   in Loop: Header=BB8_4 Depth=1
	v_div_scale_f32 v25, s[0:1], v9, v9, v3
	v_rcp_f32_e32 v26, v25
	v_div_scale_f32 v27, vcc, v3, v9, v3
	v_fma_f32 v28, -v25, v26, 1.0
	v_fmac_f32_e32 v26, v28, v26
	v_mul_f32_e32 v28, v27, v26
	v_fma_f32 v29, -v25, v28, v27
	v_fmac_f32_e32 v28, v29, v26
	v_fma_f32 v25, -v25, v28, v27
	v_div_fmas_f32 v25, v25, v26, v28
	v_div_fixup_f32 v3, v25, v9, v3
	v_fma_f32 v3, v3, v3, 1.0
	v_mul_f32_e32 v25, 0x4f800000, v3
	v_cmp_gt_f32_e32 vcc, s21, v3
	s_nop 1
	v_cndmask_b32_e32 v3, v3, v25, vcc
	v_sqrt_f32_e32 v25, v3
	s_nop 0
	v_add_u32_e32 v26, -1, v25
	v_fma_f32 v27, -v26, v25, v3
	v_cmp_ge_f32_e64 s[0:1], 0, v27
	v_add_u32_e32 v27, 1, v25
	s_nop 0
	v_cndmask_b32_e64 v26, v25, v26, s[0:1]
	v_fma_f32 v25, -v27, v25, v3
	v_cmp_lt_f32_e64 s[0:1], 0, v25
	s_nop 1
	v_cndmask_b32_e64 v25, v26, v27, s[0:1]
	v_mul_f32_e32 v26, 0x37800000, v25
	v_cndmask_b32_e32 v25, v25, v26, vcc
	v_cmp_class_f32_e32 vcc, v3, v1
	s_nop 1
	v_cndmask_b32_e32 v3, v25, v3, vcc
	v_mul_f32_e32 v26, v9, v3
.LBB8_7:                                ;   in Loop: Header=BB8_4 Depth=1
	s_or_b64 exec, exec, s[18:19]
                                        ; implicit-def: $vgpr3
                                        ; implicit-def: $vgpr9
.LBB8_8:                                ;   in Loop: Header=BB8_4 Depth=1
	s_andn2_saveexec_b64 s[16:17], s[16:17]
	s_cbranch_execz .LBB8_3
; %bb.9:                                ;   in Loop: Header=BB8_4 Depth=1
	v_div_scale_f32 v25, s[0:1], v3, v3, v9
	v_rcp_f32_e32 v26, v25
	v_div_scale_f32 v27, vcc, v9, v3, v9
	v_fma_f32 v28, -v25, v26, 1.0
	v_fmac_f32_e32 v26, v28, v26
	v_mul_f32_e32 v28, v27, v26
	v_fma_f32 v29, -v25, v28, v27
	v_fmac_f32_e32 v28, v29, v26
	v_fma_f32 v25, -v25, v28, v27
	v_div_fmas_f32 v25, v25, v26, v28
	v_div_fixup_f32 v9, v25, v3, v9
	v_fma_f32 v9, v9, v9, 1.0
	v_mul_f32_e32 v25, 0x4f800000, v9
	v_cmp_gt_f32_e32 vcc, s21, v9
	s_nop 1
	v_cndmask_b32_e32 v9, v9, v25, vcc
	v_sqrt_f32_e32 v25, v9
	s_nop 0
	v_add_u32_e32 v26, -1, v25
	v_fma_f32 v27, -v26, v25, v9
	v_cmp_ge_f32_e64 s[0:1], 0, v27
	v_add_u32_e32 v27, 1, v25
	s_nop 0
	v_cndmask_b32_e64 v26, v25, v26, s[0:1]
	v_fma_f32 v25, -v27, v25, v9
	v_cmp_lt_f32_e64 s[0:1], 0, v25
	s_nop 1
	v_cndmask_b32_e64 v25, v26, v27, s[0:1]
	v_mul_f32_e32 v26, 0x37800000, v25
	v_cndmask_b32_e32 v25, v25, v26, vcc
	v_cmp_class_f32_e32 vcc, v9, v1
	s_nop 1
	v_cndmask_b32_e32 v9, v25, v9, vcc
	v_mul_f32_e32 v26, v3, v9
	s_branch .LBB8_3
.LBB8_10:
	s_mul_i32 s0, s14, s20
	v_add_u32_e32 v4, s0, v2
	v_ashrrev_i32_e32 v5, 31, v4
	v_lshlrev_b64 v[4:5], 3, v[4:5]
	s_waitcnt lgkmcnt(0)
	v_lshl_add_u64 v[6:7], s[10:11], 0, v[4:5]
	v_lshl_add_u64 v[4:5], s[4:5], 0, v[4:5]
	global_load_dwordx2 v[8:9], v[4:5], off
	global_load_dwordx2 v[10:11], v[6:7], off
	s_sub_i32 s1, s0, s14
	v_add_u32_e32 v4, s1, v2
	v_ashrrev_i32_e32 v5, 31, v4
	v_lshlrev_b64 v[4:5], 3, v[4:5]
	v_lshl_add_u64 v[14:15], s[6:7], 0, v[4:5]
	v_lshl_add_u64 v[12:13], s[10:11], 0, v[4:5]
	v_lshl_add_u64 v[4:5], s[4:5], 0, v[4:5]
	global_load_dwordx2 v[16:17], v[14:15], off
	global_load_dwordx2 v[18:19], v[4:5], off
	s_cmp_lt_i32 s12, 3
	s_waitcnt vmcnt(3)
	v_mul_f32_e32 v1, v9, v9
	v_fmac_f32_e32 v1, v8, v8
	v_div_scale_f32 v3, s[2:3], v1, v1, 1.0
	v_rcp_f32_e32 v14, v3
	s_waitcnt vmcnt(2)
	v_pk_mul_f32 v[4:5], v[8:9], v[10:11] op_sel:[1,1] op_sel_hi:[1,0] neg_hi:[0,1]
	s_nop 0
	v_pk_fma_f32 v[4:5], v[10:11], v[8:9], v[4:5] op_sel_hi:[1,0,1]
	v_fma_f32 v9, -v3, v14, 1.0
	v_div_scale_f32 v8, vcc, 1.0, v1, 1.0
	v_fmac_f32_e32 v14, v9, v14
	v_mul_f32_e32 v9, v8, v14
	v_fma_f32 v10, -v3, v9, v8
	v_fmac_f32_e32 v9, v10, v14
	v_fma_f32 v3, -v3, v9, v8
	v_div_fmas_f32 v3, v3, v14, v9
	v_div_fixup_f32 v8, v3, v1, 1.0
	v_pk_mul_f32 v[4:5], v[8:9], v[4:5] op_sel_hi:[0,1]
	global_store_dwordx2 v[6:7], v[4:5], off
	global_load_dwordx2 v[6:7], v[12:13], off
	s_waitcnt vmcnt(2)
	v_mul_f32_e32 v1, v19, v19
	v_fmac_f32_e32 v1, v18, v18
	v_div_scale_f32 v3, s[2:3], v1, v1, 1.0
	v_rcp_f32_e32 v10, v3
	v_xor_b32_e32 v8, 0x80000000, v17
	v_mov_b32_e32 v9, v16
	v_div_scale_f32 v11, vcc, 1.0, v1, 1.0
	v_fma_f32 v14, -v3, v10, 1.0
	v_fmac_f32_e32 v10, v14, v10
	v_mul_f32_e32 v14, v11, v10
	v_pk_mul_f32 v[8:9], v[4:5], v[8:9] op_sel:[1,0]
	v_fma_f32 v15, -v3, v14, v11
	v_pk_fma_f32 v[4:5], v[16:17], v[4:5], v[8:9] op_sel_hi:[1,0,1]
	v_fmac_f32_e32 v14, v15, v10
	v_fma_f32 v3, -v3, v14, v11
	v_div_fmas_f32 v3, v3, v10, v14
	v_div_fixup_f32 v10, v3, v1, 1.0
	s_waitcnt vmcnt(0)
	v_pk_add_f32 v[4:5], v[6:7], v[4:5] neg_lo:[0,1] neg_hi:[0,1]
	s_nop 0
	v_xor_b32_e32 v7, 0x80000000, v4
	v_mov_b32_e32 v6, v5
	v_pk_mul_f32 v[6:7], v[18:19], v[6:7] op_sel:[1,0]
	s_nop 0
	v_pk_fma_f32 v[4:5], v[4:5], v[18:19], v[6:7] op_sel_hi:[1,0,1]
	s_nop 0
	v_pk_mul_f32 v[4:5], v[10:11], v[4:5] op_sel_hi:[0,1]
	global_store_dwordx2 v[12:13], v[4:5], off
	s_cbranch_scc1 .LBB8_13
; %bb.11:
	s_add_i32 s3, s12, -3
	s_mul_i32 s2, s13, s3
	s_add_i32 s1, s12, -2
	s_add_i32 s15, s15, s2
	v_add_u32_e32 v0, s15, v0
	s_mul_i32 s2, s14, s1
	s_mul_i32 s3, s14, s3
.LBB8_12:                               ; =>This Inner Loop Header: Depth=1
	v_add_u32_e32 v4, s3, v2
	v_add_u32_e32 v6, s2, v2
	v_ashrrev_i32_e32 v1, 31, v0
	v_add_u32_e32 v8, s0, v2
	v_ashrrev_i32_e32 v5, 31, v4
	v_ashrrev_i32_e32 v7, 31, v6
	v_lshl_add_u64 v[10:11], v[0:1], 3, s[8:9]
	v_ashrrev_i32_e32 v9, 31, v8
	v_lshlrev_b64 v[4:5], 3, v[4:5]
	v_lshl_add_u64 v[6:7], v[6:7], 3, s[10:11]
	global_load_dwordx2 v[10:11], v[10:11], off
	v_lshl_add_u64 v[8:9], v[8:9], 3, s[10:11]
	v_lshl_add_u64 v[12:13], s[10:11], 0, v[4:5]
	;; [unrolled: 1-line block ×3, first 2 shown]
	global_load_dwordx2 v[16:17], v[6:7], off
	global_load_dwordx2 v[18:19], v[8:9], off
	v_lshl_add_u64 v[4:5], s[4:5], 0, v[4:5]
	global_load_dwordx2 v[6:7], v[4:5], off
	global_load_dwordx2 v[8:9], v[14:15], off
	;; [unrolled: 1-line block ×3, first 2 shown]
	s_add_i32 s1, s1, -1
	v_subrev_u32_e32 v2, s14, v2
	v_subrev_u32_e32 v0, s13, v0
	s_cmp_lg_u32 s1, 0
	s_waitcnt vmcnt(5)
	v_xor_b32_e32 v4, 0x80000000, v11
	v_mov_b32_e32 v5, v10
	s_waitcnt vmcnt(2)
	v_mul_f32_e32 v1, v7, v7
	v_pk_mul_f32 v[4:5], v[18:19], v[4:5] op_sel:[1,0]
	s_waitcnt vmcnt(1)
	v_xor_b32_e32 v14, 0x80000000, v9
	v_mov_b32_e32 v15, v8
	v_fmac_f32_e32 v1, v6, v6
	v_pk_fma_f32 v[4:5], v[10:11], v[18:19], v[4:5] op_sel_hi:[1,0,1]
	v_pk_mul_f32 v[10:11], v[16:17], v[14:15] op_sel:[1,0]
	v_div_scale_f32 v3, s[16:17], v1, v1, 1.0
	v_pk_fma_f32 v[8:9], v[8:9], v[16:17], v[10:11] op_sel_hi:[1,0,1]
	v_rcp_f32_e32 v10, v3
	s_waitcnt vmcnt(0)
	v_pk_add_f32 v[8:9], v[20:21], v[8:9] neg_lo:[0,1] neg_hi:[0,1]
	v_div_scale_f32 v14, vcc, 1.0, v1, 1.0
	v_pk_add_f32 v[4:5], v[8:9], v[4:5] neg_lo:[0,1] neg_hi:[0,1]
	v_fma_f32 v11, -v3, v10, 1.0
	v_xor_b32_e32 v9, 0x80000000, v4
	v_mov_b32_e32 v8, v5
	v_pk_mul_f32 v[8:9], v[6:7], v[8:9] op_sel:[1,0]
	v_fmac_f32_e32 v10, v11, v10
	v_pk_fma_f32 v[4:5], v[4:5], v[6:7], v[8:9] op_sel_hi:[1,0,1]
	v_mul_f32_e32 v6, v14, v10
	v_fma_f32 v7, -v3, v6, v14
	v_fmac_f32_e32 v6, v7, v10
	v_fma_f32 v3, -v3, v6, v14
	v_div_fmas_f32 v3, v3, v10, v6
	v_div_fixup_f32 v6, v3, v1, 1.0
	v_pk_mul_f32 v[4:5], v[6:7], v[4:5] op_sel_hi:[0,1]
	global_store_dwordx2 v[12:13], v[4:5], off
	s_cbranch_scc1 .LBB8_12
.LBB8_13:
	s_endpgm
	.section	.rodata,"a",@progbits
	.p2align	6, 0x0
	.amdhsa_kernel _ZN9rocsparseL32gtsv_interleaved_batch_qr_kernelILj128E21rocsparse_complex_numIfEEEviiiPKT0_PS3_S6_S6_S6_
		.amdhsa_group_segment_fixed_size 0
		.amdhsa_private_segment_fixed_size 0
		.amdhsa_kernarg_size 56
		.amdhsa_user_sgpr_count 2
		.amdhsa_user_sgpr_dispatch_ptr 0
		.amdhsa_user_sgpr_queue_ptr 0
		.amdhsa_user_sgpr_kernarg_segment_ptr 1
		.amdhsa_user_sgpr_dispatch_id 0
		.amdhsa_user_sgpr_kernarg_preload_length 0
		.amdhsa_user_sgpr_kernarg_preload_offset 0
		.amdhsa_user_sgpr_private_segment_size 0
		.amdhsa_uses_dynamic_stack 0
		.amdhsa_enable_private_segment 0
		.amdhsa_system_sgpr_workgroup_id_x 1
		.amdhsa_system_sgpr_workgroup_id_y 0
		.amdhsa_system_sgpr_workgroup_id_z 0
		.amdhsa_system_sgpr_workgroup_info 0
		.amdhsa_system_vgpr_workitem_id 0
		.amdhsa_next_free_vgpr 48
		.amdhsa_next_free_sgpr 23
		.amdhsa_accum_offset 48
		.amdhsa_reserve_vcc 1
		.amdhsa_float_round_mode_32 0
		.amdhsa_float_round_mode_16_64 0
		.amdhsa_float_denorm_mode_32 3
		.amdhsa_float_denorm_mode_16_64 3
		.amdhsa_dx10_clamp 1
		.amdhsa_ieee_mode 1
		.amdhsa_fp16_overflow 0
		.amdhsa_tg_split 0
		.amdhsa_exception_fp_ieee_invalid_op 0
		.amdhsa_exception_fp_denorm_src 0
		.amdhsa_exception_fp_ieee_div_zero 0
		.amdhsa_exception_fp_ieee_overflow 0
		.amdhsa_exception_fp_ieee_underflow 0
		.amdhsa_exception_fp_ieee_inexact 0
		.amdhsa_exception_int_div_zero 0
	.end_amdhsa_kernel
	.section	.text._ZN9rocsparseL32gtsv_interleaved_batch_qr_kernelILj128E21rocsparse_complex_numIfEEEviiiPKT0_PS3_S6_S6_S6_,"axG",@progbits,_ZN9rocsparseL32gtsv_interleaved_batch_qr_kernelILj128E21rocsparse_complex_numIfEEEviiiPKT0_PS3_S6_S6_S6_,comdat
.Lfunc_end8:
	.size	_ZN9rocsparseL32gtsv_interleaved_batch_qr_kernelILj128E21rocsparse_complex_numIfEEEviiiPKT0_PS3_S6_S6_S6_, .Lfunc_end8-_ZN9rocsparseL32gtsv_interleaved_batch_qr_kernelILj128E21rocsparse_complex_numIfEEEviiiPKT0_PS3_S6_S6_S6_
                                        ; -- End function
	.set _ZN9rocsparseL32gtsv_interleaved_batch_qr_kernelILj128E21rocsparse_complex_numIfEEEviiiPKT0_PS3_S6_S6_S6_.num_vgpr, 48
	.set _ZN9rocsparseL32gtsv_interleaved_batch_qr_kernelILj128E21rocsparse_complex_numIfEEEviiiPKT0_PS3_S6_S6_S6_.num_agpr, 0
	.set _ZN9rocsparseL32gtsv_interleaved_batch_qr_kernelILj128E21rocsparse_complex_numIfEEEviiiPKT0_PS3_S6_S6_S6_.numbered_sgpr, 23
	.set _ZN9rocsparseL32gtsv_interleaved_batch_qr_kernelILj128E21rocsparse_complex_numIfEEEviiiPKT0_PS3_S6_S6_S6_.num_named_barrier, 0
	.set _ZN9rocsparseL32gtsv_interleaved_batch_qr_kernelILj128E21rocsparse_complex_numIfEEEviiiPKT0_PS3_S6_S6_S6_.private_seg_size, 0
	.set _ZN9rocsparseL32gtsv_interleaved_batch_qr_kernelILj128E21rocsparse_complex_numIfEEEviiiPKT0_PS3_S6_S6_S6_.uses_vcc, 1
	.set _ZN9rocsparseL32gtsv_interleaved_batch_qr_kernelILj128E21rocsparse_complex_numIfEEEviiiPKT0_PS3_S6_S6_S6_.uses_flat_scratch, 0
	.set _ZN9rocsparseL32gtsv_interleaved_batch_qr_kernelILj128E21rocsparse_complex_numIfEEEviiiPKT0_PS3_S6_S6_S6_.has_dyn_sized_stack, 0
	.set _ZN9rocsparseL32gtsv_interleaved_batch_qr_kernelILj128E21rocsparse_complex_numIfEEEviiiPKT0_PS3_S6_S6_S6_.has_recursion, 0
	.set _ZN9rocsparseL32gtsv_interleaved_batch_qr_kernelILj128E21rocsparse_complex_numIfEEEviiiPKT0_PS3_S6_S6_S6_.has_indirect_call, 0
	.section	.AMDGPU.csdata,"",@progbits
; Kernel info:
; codeLenInByte = 2272
; TotalNumSgprs: 29
; NumVgprs: 48
; NumAgprs: 0
; TotalNumVgprs: 48
; ScratchSize: 0
; MemoryBound: 0
; FloatMode: 240
; IeeeMode: 1
; LDSByteSize: 0 bytes/workgroup (compile time only)
; SGPRBlocks: 3
; VGPRBlocks: 5
; NumSGPRsForWavesPerEU: 29
; NumVGPRsForWavesPerEU: 48
; AccumOffset: 48
; Occupancy: 8
; WaveLimiterHint : 0
; COMPUTE_PGM_RSRC2:SCRATCH_EN: 0
; COMPUTE_PGM_RSRC2:USER_SGPR: 2
; COMPUTE_PGM_RSRC2:TRAP_HANDLER: 0
; COMPUTE_PGM_RSRC2:TGID_X_EN: 1
; COMPUTE_PGM_RSRC2:TGID_Y_EN: 0
; COMPUTE_PGM_RSRC2:TGID_Z_EN: 0
; COMPUTE_PGM_RSRC2:TIDIG_COMP_CNT: 0
; COMPUTE_PGM_RSRC3_GFX90A:ACCUM_OFFSET: 11
; COMPUTE_PGM_RSRC3_GFX90A:TG_SPLIT: 0
	.section	.text._ZN9rocsparseL36gtsv_interleaved_batch_thomas_kernelILj128E21rocsparse_complex_numIdEEEviiiPKT0_S5_S5_PS3_S6_S6_,"axG",@progbits,_ZN9rocsparseL36gtsv_interleaved_batch_thomas_kernelILj128E21rocsparse_complex_numIdEEEviiiPKT0_S5_S5_PS3_S6_S6_,comdat
	.globl	_ZN9rocsparseL36gtsv_interleaved_batch_thomas_kernelILj128E21rocsparse_complex_numIdEEEviiiPKT0_S5_S5_PS3_S6_S6_ ; -- Begin function _ZN9rocsparseL36gtsv_interleaved_batch_thomas_kernelILj128E21rocsparse_complex_numIdEEEviiiPKT0_S5_S5_PS3_S6_S6_
	.p2align	8
	.type	_ZN9rocsparseL36gtsv_interleaved_batch_thomas_kernelILj128E21rocsparse_complex_numIdEEEviiiPKT0_S5_S5_PS3_S6_S6_,@function
_ZN9rocsparseL36gtsv_interleaved_batch_thomas_kernelILj128E21rocsparse_complex_numIdEEEviiiPKT0_S5_S5_PS3_S6_S6_: ; @_ZN9rocsparseL36gtsv_interleaved_batch_thomas_kernelILj128E21rocsparse_complex_numIdEEEviiiPKT0_S5_S5_PS3_S6_S6_
; %bb.0:
	s_load_dwordx4 s[12:15], s[0:1], 0x0
	s_lshl_b32 s20, s2, 7
	v_or_b32_e32 v2, s20, v0
	s_waitcnt lgkmcnt(0)
	v_cmp_gt_i32_e32 vcc, s13, v2
	s_and_saveexec_b64 s[2:3], vcc
	s_cbranch_execz .LBB9_8
; %bb.1:
	s_load_dwordx8 s[4:11], s[0:1], 0x18
	s_load_dwordx2 s[16:17], s[0:1], 0x38
	v_ashrrev_i32_e32 v3, 31, v2
	v_lshlrev_b64 v[8:9], 4, v[2:3]
	s_cmp_lt_i32 s12, 2
	s_waitcnt lgkmcnt(0)
	v_lshl_add_u64 v[2:3], s[6:7], 0, v[8:9]
	v_lshl_add_u64 v[4:5], s[4:5], 0, v[8:9]
	global_load_dwordx4 v[10:13], v[4:5], off
	global_load_dwordx4 v[14:17], v[2:3], off
	v_lshl_add_u64 v[2:3], s[16:17], 0, v[8:9]
	global_load_dwordx4 v[18:21], v[2:3], off
	v_lshl_add_u64 v[4:5], s[8:9], 0, v[8:9]
	v_lshl_add_u64 v[6:7], s[10:11], 0, v[8:9]
	s_waitcnt vmcnt(2)
	v_mul_f64 v[22:23], v[12:13], v[12:13]
	v_fmac_f64_e32 v[22:23], v[10:11], v[10:11]
	s_waitcnt vmcnt(1)
	v_mul_f64 v[24:25], v[12:13], v[16:17]
	v_mul_f64 v[26:27], v[12:13], -v[14:15]
	s_waitcnt vmcnt(0)
	v_mul_f64 v[28:29], v[12:13], v[20:21]
	v_mul_f64 v[30:31], v[12:13], -v[18:19]
	v_div_scale_f64 v[12:13], s[2:3], v[22:23], v[22:23], 1.0
	v_fmac_f64_e32 v[24:25], v[14:15], v[10:11]
	v_rcp_f64_e32 v[14:15], v[12:13]
	v_fmac_f64_e32 v[26:27], v[16:17], v[10:11]
	v_fmac_f64_e32 v[28:29], v[18:19], v[10:11]
	v_fmac_f64_e32 v[30:31], v[20:21], v[10:11]
	v_fma_f64 v[16:17], -v[12:13], v[14:15], 1.0
	v_fmac_f64_e32 v[14:15], v[14:15], v[16:17]
	v_fma_f64 v[16:17], -v[12:13], v[14:15], 1.0
	v_div_scale_f64 v[10:11], vcc, 1.0, v[22:23], 1.0
	v_fmac_f64_e32 v[14:15], v[14:15], v[16:17]
	v_mul_f64 v[16:17], v[10:11], v[14:15]
	v_fma_f64 v[10:11], -v[12:13], v[16:17], v[10:11]
	s_nop 0
	v_div_fmas_f64 v[10:11], v[10:11], v[14:15], v[16:17]
	v_div_fixup_f64 v[16:17], v[10:11], v[22:23], 1.0
	v_mul_f64 v[10:11], v[16:17], v[24:25]
	v_mul_f64 v[12:13], v[16:17], v[26:27]
	s_mov_b64 s[2:3], -1
	v_mul_f64 v[14:15], v[16:17], v[28:29]
	v_mul_f64 v[16:17], v[16:17], v[30:31]
	global_store_dwordx4 v[4:5], v[10:13], off
	global_store_dwordx4 v[6:7], v[14:17], off
	s_cbranch_scc0 .LBB9_3
; %bb.2:
	s_add_i32 s15, s12, -1
	s_mul_i32 s2, s13, s15
	s_ashr_i32 s3, s2, 31
	v_lshl_add_u64 v[10:11], s[2:3], 4, v[6:7]
	global_load_dwordx4 v[10:13], v[10:11], off
	s_mul_i32 s2, s14, s15
	s_ashr_i32 s3, s2, 31
	v_lshl_add_u64 v[14:15], s[2:3], 4, v[2:3]
	s_mov_b64 s[2:3], 0
	s_waitcnt vmcnt(0)
	global_store_dwordx4 v[14:15], v[10:13], off
.LBB9_3:
	s_andn2_b64 vcc, exec, s[2:3]
	s_cbranch_vccnz .LBB9_8
; %bb.4:
	s_ashr_i32 s15, s14, 31
	s_lshl_b64 s[2:3], s[14:15], 4
	s_add_i32 s22, s12, -1
	s_or_b32 s15, s2, 8
	s_add_u32 s16, s16, s15
	s_addc_u32 s17, s17, s3
	s_ashr_i32 s19, s13, 31
	s_mov_b32 s18, s13
	s_lshl_b64 s[18:19], s[18:19], 4
	s_or_b32 s21, s18, 8
	s_add_u32 s8, s8, s21
	s_addc_u32 s9, s9, s19
	s_add_u32 s4, s4, s15
	s_addc_u32 s5, s5, s3
	s_load_dwordx2 s[0:1], s[0:1], 0x10
	s_add_u32 s10, s10, s21
	s_addc_u32 s11, s11, s19
	s_add_u32 s6, s6, s15
	s_addc_u32 s7, s7, s3
	s_add_i32 s20, s20, s14
	v_add_u32_e32 v0, s20, v0
	s_mov_b32 s20, 0
	s_mov_b32 s15, s22
.LBB9_5:                                ; =>This Inner Loop Header: Depth=1
	v_ashrrev_i32_e32 v1, 31, v0
	s_ashr_i32 s21, s20, 31
	s_waitcnt lgkmcnt(0)
	v_lshl_add_u64 v[14:15], v[0:1], 4, s[0:1]
	s_lshl_b64 s[24:25], s[20:21], 4
	v_lshl_add_u64 v[10:11], s[4:5], 0, v[8:9]
	global_load_dwordx4 v[14:17], v[14:15], off
	v_lshl_add_u64 v[30:31], v[4:5], 0, s[24:25]
	v_lshl_add_u64 v[26:27], s[6:7], 0, v[8:9]
	global_load_dwordx4 v[10:13], v[10:11], off offset:-8
	s_nop 0
	global_load_dwordx4 v[18:21], v[30:31], off
	global_load_dwordx4 v[22:25], v[26:27], off offset:-8
	v_lshl_add_u64 v[26:27], v[6:7], 0, s[24:25]
	v_lshl_add_u64 v[34:35], s[8:9], 0, v[8:9]
	global_load_dwordx4 v[26:29], v[26:27], off
	v_lshl_add_u64 v[32:33], s[16:17], 0, v[8:9]
	s_add_i32 s15, s15, -1
	s_add_i32 s20, s20, s13
	s_add_u32 s16, s16, s2
	s_addc_u32 s17, s17, s3
	s_add_u32 s8, s8, s18
	s_addc_u32 s9, s9, s19
	;; [unrolled: 2-line block ×3, first 2 shown]
	v_add_u32_e32 v0, s14, v0
	s_waitcnt vmcnt(2)
	v_mul_f64 v[38:39], v[16:17], v[18:19]
	v_mul_f64 v[36:37], v[16:17], -v[20:21]
	v_fmac_f64_e32 v[38:39], v[20:21], v[14:15]
	v_fmac_f64_e32 v[36:37], v[18:19], v[14:15]
	v_add_f64 v[20:21], v[12:13], -v[38:39]
	v_add_f64 v[18:19], v[10:11], -v[36:37]
	v_mul_f64 v[36:37], v[20:21], v[20:21]
	s_waitcnt vmcnt(1)
	v_mul_f64 v[38:39], v[24:25], v[20:21]
	v_mul_f64 v[20:21], v[20:21], -v[22:23]
	v_fmac_f64_e32 v[36:37], v[18:19], v[18:19]
	v_fmac_f64_e32 v[38:39], v[22:23], v[18:19]
	;; [unrolled: 1-line block ×3, first 2 shown]
	v_div_scale_f64 v[18:19], s[24:25], v[36:37], v[36:37], 1.0
	v_rcp_f64_e32 v[24:25], v[18:19]
	v_div_scale_f64 v[22:23], vcc, 1.0, v[36:37], 1.0
	v_fma_f64 v[40:41], -v[18:19], v[24:25], 1.0
	v_fmac_f64_e32 v[24:25], v[24:25], v[40:41]
	v_fma_f64 v[40:41], -v[18:19], v[24:25], 1.0
	v_fmac_f64_e32 v[24:25], v[24:25], v[40:41]
	v_mul_f64 v[40:41], v[22:23], v[24:25]
	v_fma_f64 v[18:19], -v[18:19], v[40:41], v[22:23]
	v_div_fmas_f64 v[18:19], v[18:19], v[24:25], v[40:41]
	v_div_fixup_f64 v[22:23], v[18:19], v[36:37], 1.0
	v_mul_f64 v[18:19], v[38:39], v[22:23]
	v_mul_f64 v[20:21], v[20:21], v[22:23]
	global_store_dwordx4 v[34:35], v[18:21], off offset:-8
	global_load_dwordx4 v[18:21], v[30:31], off
	s_nop 0
	global_load_dwordx4 v[22:25], v[32:33], off offset:-8
	s_waitcnt vmcnt(3)
	v_mul_f64 v[32:33], v[16:17], -v[28:29]
	v_mul_f64 v[34:35], v[16:17], v[26:27]
	v_fmac_f64_e32 v[32:33], v[26:27], v[14:15]
	v_fmac_f64_e32 v[34:35], v[28:29], v[14:15]
	v_lshl_add_u64 v[30:31], s[10:11], 0, v[8:9]
	s_add_u32 s10, s10, s18
	s_addc_u32 s11, s11, s19
	s_add_u32 s6, s6, s2
	s_addc_u32 s7, s7, s3
	s_cmp_eq_u32 s15, 0
	s_waitcnt vmcnt(1)
	v_mul_f64 v[26:27], v[16:17], -v[20:21]
	v_mul_f64 v[16:17], v[16:17], v[18:19]
	v_fmac_f64_e32 v[16:17], v[20:21], v[14:15]
	v_fmac_f64_e32 v[26:27], v[18:19], v[14:15]
	v_add_f64 v[12:13], v[12:13], -v[16:17]
	s_waitcnt vmcnt(0)
	v_add_f64 v[22:23], v[22:23], -v[32:33]
	v_add_f64 v[24:25], v[24:25], -v[34:35]
	;; [unrolled: 1-line block ×3, first 2 shown]
	v_mul_f64 v[14:15], v[12:13], v[12:13]
	v_mul_f64 v[16:17], v[24:25], v[12:13]
	v_mul_f64 v[12:13], v[12:13], -v[22:23]
	v_fmac_f64_e32 v[14:15], v[10:11], v[10:11]
	v_fmac_f64_e32 v[16:17], v[22:23], v[10:11]
	;; [unrolled: 1-line block ×3, first 2 shown]
	v_div_scale_f64 v[10:11], s[24:25], v[14:15], v[14:15], 1.0
	v_rcp_f64_e32 v[18:19], v[10:11]
	v_div_scale_f64 v[20:21], vcc, 1.0, v[14:15], 1.0
	v_fma_f64 v[22:23], -v[10:11], v[18:19], 1.0
	v_fmac_f64_e32 v[18:19], v[18:19], v[22:23]
	v_fma_f64 v[22:23], -v[10:11], v[18:19], 1.0
	v_fmac_f64_e32 v[18:19], v[18:19], v[22:23]
	v_mul_f64 v[22:23], v[20:21], v[18:19]
	v_fma_f64 v[10:11], -v[10:11], v[22:23], v[20:21]
	v_div_fmas_f64 v[10:11], v[10:11], v[18:19], v[22:23]
	v_div_fixup_f64 v[14:15], v[10:11], v[14:15], 1.0
	v_mul_f64 v[10:11], v[16:17], v[14:15]
	v_mul_f64 v[12:13], v[12:13], v[14:15]
	global_store_dwordx4 v[30:31], v[10:13], off offset:-8
	s_cbranch_scc0 .LBB9_5
; %bb.6:
	s_mul_i32 s0, s13, s22
	s_ashr_i32 s1, s0, 31
	v_lshl_add_u64 v[0:1], s[0:1], 4, v[6:7]
	global_load_dwordx4 v[8:11], v[0:1], off
	s_mul_i32 s0, s14, s22
	s_add_i32 s2, s12, -2
	s_ashr_i32 s1, s0, 31
	s_mul_i32 s4, s14, s2
	s_mul_i32 s2, s13, s2
	v_lshl_add_u64 v[0:1], s[0:1], 4, v[2:3]
	s_mov_b32 s1, 0
	s_waitcnt vmcnt(0)
	global_store_dwordx4 v[0:1], v[8:11], off
.LBB9_7:                                ; =>This Inner Loop Header: Depth=1
	s_add_i32 s6, s0, s1
	s_ashr_i32 s3, s2, 31
	s_ashr_i32 s7, s6, 31
	s_lshl_b64 s[8:9], s[2:3], 4
	v_lshl_add_u64 v[22:23], s[6:7], 4, v[2:3]
	v_lshl_add_u64 v[0:1], v[6:7], 0, s[8:9]
	;; [unrolled: 1-line block ×3, first 2 shown]
	global_load_dwordx4 v[8:11], v[22:23], off
	global_load_dwordx4 v[12:15], v[20:21], off
	;; [unrolled: 1-line block ×3, first 2 shown]
	s_add_i32 s6, s4, s1
	s_add_i32 s22, s22, -1
	s_sub_i32 s1, s1, s14
	s_ashr_i32 s7, s6, 31
	s_sub_i32 s2, s2, s13
	v_lshl_add_u64 v[0:1], s[6:7], 4, v[2:3]
	s_cmp_eq_u32 s22, 0
	s_waitcnt vmcnt(1)
	v_mul_f64 v[20:21], v[10:11], -v[14:15]
	v_mul_f64 v[10:11], v[10:11], v[12:13]
	v_fmac_f64_e32 v[20:21], v[12:13], v[8:9]
	v_fmac_f64_e32 v[10:11], v[14:15], v[8:9]
	s_waitcnt vmcnt(0)
	v_add_f64 v[8:9], v[16:17], -v[20:21]
	v_add_f64 v[10:11], v[18:19], -v[10:11]
	global_store_dwordx4 v[0:1], v[8:11], off
	s_cbranch_scc0 .LBB9_7
.LBB9_8:
	s_endpgm
	.section	.rodata,"a",@progbits
	.p2align	6, 0x0
	.amdhsa_kernel _ZN9rocsparseL36gtsv_interleaved_batch_thomas_kernelILj128E21rocsparse_complex_numIdEEEviiiPKT0_S5_S5_PS3_S6_S6_
		.amdhsa_group_segment_fixed_size 0
		.amdhsa_private_segment_fixed_size 0
		.amdhsa_kernarg_size 64
		.amdhsa_user_sgpr_count 2
		.amdhsa_user_sgpr_dispatch_ptr 0
		.amdhsa_user_sgpr_queue_ptr 0
		.amdhsa_user_sgpr_kernarg_segment_ptr 1
		.amdhsa_user_sgpr_dispatch_id 0
		.amdhsa_user_sgpr_kernarg_preload_length 0
		.amdhsa_user_sgpr_kernarg_preload_offset 0
		.amdhsa_user_sgpr_private_segment_size 0
		.amdhsa_uses_dynamic_stack 0
		.amdhsa_enable_private_segment 0
		.amdhsa_system_sgpr_workgroup_id_x 1
		.amdhsa_system_sgpr_workgroup_id_y 0
		.amdhsa_system_sgpr_workgroup_id_z 0
		.amdhsa_system_sgpr_workgroup_info 0
		.amdhsa_system_vgpr_workitem_id 0
		.amdhsa_next_free_vgpr 42
		.amdhsa_next_free_sgpr 26
		.amdhsa_accum_offset 44
		.amdhsa_reserve_vcc 1
		.amdhsa_float_round_mode_32 0
		.amdhsa_float_round_mode_16_64 0
		.amdhsa_float_denorm_mode_32 3
		.amdhsa_float_denorm_mode_16_64 3
		.amdhsa_dx10_clamp 1
		.amdhsa_ieee_mode 1
		.amdhsa_fp16_overflow 0
		.amdhsa_tg_split 0
		.amdhsa_exception_fp_ieee_invalid_op 0
		.amdhsa_exception_fp_denorm_src 0
		.amdhsa_exception_fp_ieee_div_zero 0
		.amdhsa_exception_fp_ieee_overflow 0
		.amdhsa_exception_fp_ieee_underflow 0
		.amdhsa_exception_fp_ieee_inexact 0
		.amdhsa_exception_int_div_zero 0
	.end_amdhsa_kernel
	.section	.text._ZN9rocsparseL36gtsv_interleaved_batch_thomas_kernelILj128E21rocsparse_complex_numIdEEEviiiPKT0_S5_S5_PS3_S6_S6_,"axG",@progbits,_ZN9rocsparseL36gtsv_interleaved_batch_thomas_kernelILj128E21rocsparse_complex_numIdEEEviiiPKT0_S5_S5_PS3_S6_S6_,comdat
.Lfunc_end9:
	.size	_ZN9rocsparseL36gtsv_interleaved_batch_thomas_kernelILj128E21rocsparse_complex_numIdEEEviiiPKT0_S5_S5_PS3_S6_S6_, .Lfunc_end9-_ZN9rocsparseL36gtsv_interleaved_batch_thomas_kernelILj128E21rocsparse_complex_numIdEEEviiiPKT0_S5_S5_PS3_S6_S6_
                                        ; -- End function
	.set _ZN9rocsparseL36gtsv_interleaved_batch_thomas_kernelILj128E21rocsparse_complex_numIdEEEviiiPKT0_S5_S5_PS3_S6_S6_.num_vgpr, 42
	.set _ZN9rocsparseL36gtsv_interleaved_batch_thomas_kernelILj128E21rocsparse_complex_numIdEEEviiiPKT0_S5_S5_PS3_S6_S6_.num_agpr, 0
	.set _ZN9rocsparseL36gtsv_interleaved_batch_thomas_kernelILj128E21rocsparse_complex_numIdEEEviiiPKT0_S5_S5_PS3_S6_S6_.numbered_sgpr, 26
	.set _ZN9rocsparseL36gtsv_interleaved_batch_thomas_kernelILj128E21rocsparse_complex_numIdEEEviiiPKT0_S5_S5_PS3_S6_S6_.num_named_barrier, 0
	.set _ZN9rocsparseL36gtsv_interleaved_batch_thomas_kernelILj128E21rocsparse_complex_numIdEEEviiiPKT0_S5_S5_PS3_S6_S6_.private_seg_size, 0
	.set _ZN9rocsparseL36gtsv_interleaved_batch_thomas_kernelILj128E21rocsparse_complex_numIdEEEviiiPKT0_S5_S5_PS3_S6_S6_.uses_vcc, 1
	.set _ZN9rocsparseL36gtsv_interleaved_batch_thomas_kernelILj128E21rocsparse_complex_numIdEEEviiiPKT0_S5_S5_PS3_S6_S6_.uses_flat_scratch, 0
	.set _ZN9rocsparseL36gtsv_interleaved_batch_thomas_kernelILj128E21rocsparse_complex_numIdEEEviiiPKT0_S5_S5_PS3_S6_S6_.has_dyn_sized_stack, 0
	.set _ZN9rocsparseL36gtsv_interleaved_batch_thomas_kernelILj128E21rocsparse_complex_numIdEEEviiiPKT0_S5_S5_PS3_S6_S6_.has_recursion, 0
	.set _ZN9rocsparseL36gtsv_interleaved_batch_thomas_kernelILj128E21rocsparse_complex_numIdEEEviiiPKT0_S5_S5_PS3_S6_S6_.has_indirect_call, 0
	.section	.AMDGPU.csdata,"",@progbits
; Kernel info:
; codeLenInByte = 1348
; TotalNumSgprs: 32
; NumVgprs: 42
; NumAgprs: 0
; TotalNumVgprs: 42
; ScratchSize: 0
; MemoryBound: 0
; FloatMode: 240
; IeeeMode: 1
; LDSByteSize: 0 bytes/workgroup (compile time only)
; SGPRBlocks: 3
; VGPRBlocks: 5
; NumSGPRsForWavesPerEU: 32
; NumVGPRsForWavesPerEU: 42
; AccumOffset: 44
; Occupancy: 8
; WaveLimiterHint : 0
; COMPUTE_PGM_RSRC2:SCRATCH_EN: 0
; COMPUTE_PGM_RSRC2:USER_SGPR: 2
; COMPUTE_PGM_RSRC2:TRAP_HANDLER: 0
; COMPUTE_PGM_RSRC2:TGID_X_EN: 1
; COMPUTE_PGM_RSRC2:TGID_Y_EN: 0
; COMPUTE_PGM_RSRC2:TGID_Z_EN: 0
; COMPUTE_PGM_RSRC2:TIDIG_COMP_CNT: 0
; COMPUTE_PGM_RSRC3_GFX90A:ACCUM_OFFSET: 10
; COMPUTE_PGM_RSRC3_GFX90A:TG_SPLIT: 0
	.section	.text._ZN9rocsparseL32gtsv_interleaved_batch_lu_kernelILj128E21rocsparse_complex_numIdEEEviiiPT0_S4_S4_S4_PiS4_,"axG",@progbits,_ZN9rocsparseL32gtsv_interleaved_batch_lu_kernelILj128E21rocsparse_complex_numIdEEEviiiPT0_S4_S4_S4_PiS4_,comdat
	.globl	_ZN9rocsparseL32gtsv_interleaved_batch_lu_kernelILj128E21rocsparse_complex_numIdEEEviiiPT0_S4_S4_S4_PiS4_ ; -- Begin function _ZN9rocsparseL32gtsv_interleaved_batch_lu_kernelILj128E21rocsparse_complex_numIdEEEviiiPT0_S4_S4_S4_PiS4_
	.p2align	8
	.type	_ZN9rocsparseL32gtsv_interleaved_batch_lu_kernelILj128E21rocsparse_complex_numIdEEEviiiPT0_S4_S4_S4_PiS4_,@function
_ZN9rocsparseL32gtsv_interleaved_batch_lu_kernelILj128E21rocsparse_complex_numIdEEEviiiPT0_S4_S4_S4_PiS4_: ; @_ZN9rocsparseL32gtsv_interleaved_batch_lu_kernelILj128E21rocsparse_complex_numIdEEEviiiPT0_S4_S4_S4_PiS4_
; %bb.0:
	s_load_dwordx4 s[12:15], s[2:3], 0x0
	v_and_b32_e32 v28, 0x3ff, v0
	s_waitcnt lgkmcnt(0)
	s_lshl_b32 s15, s4, 7
	v_or_b32_e32 v8, s15, v28
	v_cmp_gt_i32_e32 vcc, s13, v8
	s_and_saveexec_b64 s[4:5], vcc
	s_cbranch_execz .LBB10_31
; %bb.1:
	s_load_dwordx8 s[4:11], s[2:3], 0x18
	s_load_dwordx2 s[16:17], s[2:3], 0x38
	v_ashrrev_i32_e32 v9, 31, v8
	s_add_i32 s22, s12, -1
	v_mov_b32_e32 v1, 0
	s_waitcnt lgkmcnt(0)
	v_lshl_add_u64 v[10:11], v[8:9], 2, s[10:11]
	s_cmp_lt_i32 s12, 2
	global_store_dword v[10:11], v1, off
	s_cbranch_scc1 .LBB10_28
; %bb.2:
	s_load_dwordx2 s[20:21], s[0:1], 0x4
	s_load_dwordx2 s[18:19], s[2:3], 0x10
	v_bfe_u32 v1, v0, 10, 10
	v_bfe_u32 v0, v0, 20, 10
	s_mov_b32 s24, 0
	s_waitcnt lgkmcnt(0)
	s_lshr_b32 s0, s20, 16
	v_mul_u32_u24_e32 v1, s21, v1
	s_mul_i32 s0, s0, s21
	v_mad_u32_u24 v1, s0, v28, v1
	v_add_lshl_u32 v9, v1, v0, 4
	s_mov_b32 s0, 0
	v_add_u32_e32 v29, 0x2000, v9
	v_add_u32_e32 v30, 0x1800, v9
	;; [unrolled: 1-line block ×4, first 2 shown]
	s_brev_b32 s1, 8
	v_mov_b32_e32 v33, 0x260
	v_mov_b32_e32 v34, 0x100
	;; [unrolled: 1-line block ×3, first 2 shown]
	s_branch .LBB10_4
.LBB10_3:                               ;   in Loop: Header=BB10_4 Depth=1
	s_or_b64 exec, exec, s[2:3]
	s_cmp_lg_u32 s23, s22
	s_mov_b32 s24, s23
	s_cbranch_scc0 .LBB10_20
.LBB10_4:                               ; =>This Inner Loop Header: Depth=1
	s_mul_i32 s2, s24, s14
	v_add_u32_e32 v14, s2, v8
	v_ashrrev_i32_e32 v15, 31, v14
	v_lshl_add_u64 v[16:17], v[14:15], 4, s[4:5]
	global_load_dwordx4 v[0:3], v[16:17], off
	v_add_u32_e32 v18, s14, v14
	v_ashrrev_i32_e32 v19, 31, v18
	v_lshl_add_u64 v[12:13], v[18:19], 4, s[18:19]
	global_load_dwordx4 v[4:7], v[12:13], off
	s_waitcnt vmcnt(1)
	v_xor_b32_e32 v20, 0x80000000, v1
	v_cmp_gt_f64_e32 vcc, 0, v[0:1]
	v_xor_b32_e32 v21, 0x80000000, v3
	v_mov_b32_e32 v22, v0
	v_cndmask_b32_e32 v23, v1, v20, vcc
	v_cmp_gt_f64_e32 vcc, 0, v[2:3]
	v_mov_b32_e32 v24, v2
	s_nop 0
	v_cndmask_b32_e32 v25, v3, v21, vcc
	v_cmp_ngt_f64_e32 vcc, v[22:23], v[24:25]
                                        ; implicit-def: $vgpr20_vgpr21
	s_and_saveexec_b64 s[2:3], vcc
	s_xor_b64 s[2:3], exec, s[2:3]
	s_cbranch_execz .LBB10_8
; %bb.5:                                ;   in Loop: Header=BB10_4 Depth=1
	v_mov_b64_e32 v[20:21], 0
	v_cmp_neq_f64_e32 vcc, 0, v[2:3]
	s_and_saveexec_b64 s[20:21], vcc
	s_cbranch_execz .LBB10_7
; %bb.6:                                ;   in Loop: Header=BB10_4 Depth=1
	v_div_scale_f64 v[20:21], s[26:27], v[24:25], v[24:25], v[22:23]
	v_rcp_f64_e32 v[26:27], v[20:21]
	v_div_scale_f64 v[36:37], vcc, v[22:23], v[24:25], v[22:23]
	v_fma_f64 v[38:39], -v[20:21], v[26:27], 1.0
	v_fmac_f64_e32 v[26:27], v[26:27], v[38:39]
	v_fma_f64 v[38:39], -v[20:21], v[26:27], 1.0
	v_fmac_f64_e32 v[26:27], v[26:27], v[38:39]
	v_mul_f64 v[38:39], v[36:37], v[26:27]
	v_fma_f64 v[20:21], -v[20:21], v[38:39], v[36:37]
	v_div_fmas_f64 v[20:21], v[20:21], v[26:27], v[38:39]
	v_div_fixup_f64 v[20:21], v[20:21], v[24:25], v[22:23]
	v_fma_f64 v[20:21], v[20:21], v[20:21], 1.0
	v_cmp_gt_f64_e32 vcc, s[0:1], v[20:21]
	s_nop 1
	v_cndmask_b32_e32 v22, 0, v34, vcc
	v_ldexp_f64 v[20:21], v[20:21], v22
	v_rsq_f64_e32 v[22:23], v[20:21]
	s_nop 0
	v_mul_f64 v[26:27], v[20:21], v[22:23]
	v_mul_f64 v[22:23], v[22:23], 0.5
	v_fma_f64 v[36:37], -v[22:23], v[26:27], 0.5
	v_fmac_f64_e32 v[26:27], v[26:27], v[36:37]
	v_fma_f64 v[38:39], -v[26:27], v[26:27], v[20:21]
	v_fmac_f64_e32 v[22:23], v[22:23], v[36:37]
	v_fmac_f64_e32 v[26:27], v[38:39], v[22:23]
	v_fma_f64 v[36:37], -v[26:27], v[26:27], v[20:21]
	v_fmac_f64_e32 v[26:27], v[36:37], v[22:23]
	v_cndmask_b32_e32 v22, 0, v35, vcc
	v_ldexp_f64 v[22:23], v[26:27], v22
	v_cmp_class_f64_e32 vcc, v[20:21], v33
	s_nop 1
	v_cndmask_b32_e32 v21, v23, v21, vcc
	v_cndmask_b32_e32 v20, v22, v20, vcc
	v_mul_f64 v[20:21], v[24:25], v[20:21]
.LBB10_7:                               ;   in Loop: Header=BB10_4 Depth=1
	s_or_b64 exec, exec, s[20:21]
                                        ; implicit-def: $vgpr22_vgpr23
                                        ; implicit-def: $vgpr24_vgpr25
.LBB10_8:                               ;   in Loop: Header=BB10_4 Depth=1
	s_andn2_saveexec_b64 s[2:3], s[2:3]
	s_cbranch_execz .LBB10_10
; %bb.9:                                ;   in Loop: Header=BB10_4 Depth=1
	v_div_scale_f64 v[20:21], s[20:21], v[22:23], v[22:23], v[24:25]
	v_rcp_f64_e32 v[26:27], v[20:21]
	v_div_scale_f64 v[36:37], vcc, v[24:25], v[22:23], v[24:25]
	v_fma_f64 v[38:39], -v[20:21], v[26:27], 1.0
	v_fmac_f64_e32 v[26:27], v[26:27], v[38:39]
	v_fma_f64 v[38:39], -v[20:21], v[26:27], 1.0
	v_fmac_f64_e32 v[26:27], v[26:27], v[38:39]
	v_mul_f64 v[38:39], v[36:37], v[26:27]
	v_fma_f64 v[20:21], -v[20:21], v[38:39], v[36:37]
	v_div_fmas_f64 v[20:21], v[20:21], v[26:27], v[38:39]
	v_div_fixup_f64 v[20:21], v[20:21], v[22:23], v[24:25]
	v_fma_f64 v[20:21], v[20:21], v[20:21], 1.0
	v_cmp_gt_f64_e32 vcc, s[0:1], v[20:21]
	s_nop 1
	v_cndmask_b32_e32 v24, 0, v34, vcc
	v_ldexp_f64 v[20:21], v[20:21], v24
	v_rsq_f64_e32 v[24:25], v[20:21]
	s_nop 0
	v_mul_f64 v[26:27], v[20:21], v[24:25]
	v_mul_f64 v[24:25], v[24:25], 0.5
	v_fma_f64 v[36:37], -v[24:25], v[26:27], 0.5
	v_fmac_f64_e32 v[26:27], v[26:27], v[36:37]
	v_fma_f64 v[38:39], -v[26:27], v[26:27], v[20:21]
	v_fmac_f64_e32 v[24:25], v[24:25], v[36:37]
	v_fmac_f64_e32 v[26:27], v[38:39], v[24:25]
	v_fma_f64 v[36:37], -v[26:27], v[26:27], v[20:21]
	v_fmac_f64_e32 v[26:27], v[36:37], v[24:25]
	v_cndmask_b32_e32 v24, 0, v35, vcc
	v_ldexp_f64 v[24:25], v[26:27], v24
	v_cmp_class_f64_e32 vcc, v[20:21], v33
	s_nop 1
	v_cndmask_b32_e32 v21, v25, v21, vcc
	v_cndmask_b32_e32 v20, v24, v20, vcc
	v_mul_f64 v[20:21], v[22:23], v[20:21]
.LBB10_10:                              ;   in Loop: Header=BB10_4 Depth=1
	s_or_b64 exec, exec, s[2:3]
	s_waitcnt vmcnt(0)
	v_xor_b32_e32 v22, 0x80000000, v5
	v_cmp_gt_f64_e32 vcc, 0, v[4:5]
	v_xor_b32_e32 v24, 0x80000000, v7
                                        ; implicit-def: $vgpr26_vgpr27
	s_nop 0
	v_cndmask_b32_e32 v23, v5, v22, vcc
	v_cmp_gt_f64_e32 vcc, 0, v[6:7]
	v_mov_b32_e32 v22, v4
	s_nop 0
	v_cndmask_b32_e32 v25, v7, v24, vcc
	v_mov_b32_e32 v24, v6
	v_cmp_ngt_f64_e32 vcc, v[22:23], v[24:25]
	s_and_saveexec_b64 s[2:3], vcc
	s_xor_b64 s[2:3], exec, s[2:3]
	s_cbranch_execz .LBB10_14
; %bb.11:                               ;   in Loop: Header=BB10_4 Depth=1
	v_mov_b64_e32 v[26:27], 0
	v_cmp_neq_f64_e32 vcc, 0, v[6:7]
	s_and_saveexec_b64 s[20:21], vcc
	s_cbranch_execz .LBB10_13
; %bb.12:                               ;   in Loop: Header=BB10_4 Depth=1
	v_div_scale_f64 v[26:27], s[26:27], v[24:25], v[24:25], v[22:23]
	v_rcp_f64_e32 v[36:37], v[26:27]
	v_div_scale_f64 v[38:39], vcc, v[22:23], v[24:25], v[22:23]
	v_fma_f64 v[40:41], -v[26:27], v[36:37], 1.0
	v_fmac_f64_e32 v[36:37], v[36:37], v[40:41]
	v_fma_f64 v[40:41], -v[26:27], v[36:37], 1.0
	v_fmac_f64_e32 v[36:37], v[36:37], v[40:41]
	v_mul_f64 v[40:41], v[38:39], v[36:37]
	v_fma_f64 v[26:27], -v[26:27], v[40:41], v[38:39]
	v_div_fmas_f64 v[26:27], v[26:27], v[36:37], v[40:41]
	v_div_fixup_f64 v[22:23], v[26:27], v[24:25], v[22:23]
	v_fma_f64 v[22:23], v[22:23], v[22:23], 1.0
	v_cmp_gt_f64_e32 vcc, s[0:1], v[22:23]
	s_nop 1
	v_cndmask_b32_e32 v26, 0, v34, vcc
	v_ldexp_f64 v[22:23], v[22:23], v26
	v_rsq_f64_e32 v[26:27], v[22:23]
	s_nop 0
	v_mul_f64 v[36:37], v[22:23], v[26:27]
	v_mul_f64 v[26:27], v[26:27], 0.5
	v_fma_f64 v[38:39], -v[26:27], v[36:37], 0.5
	v_fmac_f64_e32 v[36:37], v[36:37], v[38:39]
	v_fma_f64 v[40:41], -v[36:37], v[36:37], v[22:23]
	v_fmac_f64_e32 v[26:27], v[26:27], v[38:39]
	v_fmac_f64_e32 v[36:37], v[40:41], v[26:27]
	v_fma_f64 v[38:39], -v[36:37], v[36:37], v[22:23]
	v_fmac_f64_e32 v[36:37], v[38:39], v[26:27]
	v_cndmask_b32_e32 v26, 0, v35, vcc
	v_ldexp_f64 v[26:27], v[36:37], v26
	v_cmp_class_f64_e32 vcc, v[22:23], v33
	s_nop 1
	v_cndmask_b32_e32 v23, v27, v23, vcc
	v_cndmask_b32_e32 v22, v26, v22, vcc
	v_mul_f64 v[26:27], v[24:25], v[22:23]
.LBB10_13:                              ;   in Loop: Header=BB10_4 Depth=1
	s_or_b64 exec, exec, s[20:21]
                                        ; implicit-def: $vgpr22_vgpr23
                                        ; implicit-def: $vgpr24_vgpr25
.LBB10_14:                              ;   in Loop: Header=BB10_4 Depth=1
	s_andn2_saveexec_b64 s[2:3], s[2:3]
	s_cbranch_execz .LBB10_16
; %bb.15:                               ;   in Loop: Header=BB10_4 Depth=1
	v_div_scale_f64 v[26:27], s[20:21], v[22:23], v[22:23], v[24:25]
	v_rcp_f64_e32 v[36:37], v[26:27]
	v_div_scale_f64 v[38:39], vcc, v[24:25], v[22:23], v[24:25]
	v_fma_f64 v[40:41], -v[26:27], v[36:37], 1.0
	v_fmac_f64_e32 v[36:37], v[36:37], v[40:41]
	v_fma_f64 v[40:41], -v[26:27], v[36:37], 1.0
	v_fmac_f64_e32 v[36:37], v[36:37], v[40:41]
	v_mul_f64 v[40:41], v[38:39], v[36:37]
	v_fma_f64 v[26:27], -v[26:27], v[40:41], v[38:39]
	v_div_fmas_f64 v[26:27], v[26:27], v[36:37], v[40:41]
	v_div_fixup_f64 v[24:25], v[26:27], v[22:23], v[24:25]
	v_fma_f64 v[24:25], v[24:25], v[24:25], 1.0
	v_cmp_gt_f64_e32 vcc, s[0:1], v[24:25]
	s_nop 1
	v_cndmask_b32_e32 v26, 0, v34, vcc
	v_ldexp_f64 v[24:25], v[24:25], v26
	v_rsq_f64_e32 v[26:27], v[24:25]
	s_nop 0
	v_mul_f64 v[36:37], v[24:25], v[26:27]
	v_mul_f64 v[26:27], v[26:27], 0.5
	v_fma_f64 v[38:39], -v[26:27], v[36:37], 0.5
	v_fmac_f64_e32 v[36:37], v[36:37], v[38:39]
	v_fma_f64 v[40:41], -v[36:37], v[36:37], v[24:25]
	v_fmac_f64_e32 v[26:27], v[26:27], v[38:39]
	v_fmac_f64_e32 v[36:37], v[40:41], v[26:27]
	v_fma_f64 v[38:39], -v[36:37], v[36:37], v[24:25]
	v_fmac_f64_e32 v[36:37], v[38:39], v[26:27]
	v_cndmask_b32_e32 v26, 0, v35, vcc
	v_ldexp_f64 v[26:27], v[36:37], v26
	v_cmp_class_f64_e32 vcc, v[24:25], v33
	s_nop 1
	v_cndmask_b32_e32 v25, v27, v25, vcc
	v_cndmask_b32_e32 v24, v26, v24, vcc
	v_mul_f64 v[26:27], v[22:23], v[24:25]
.LBB10_16:                              ;   in Loop: Header=BB10_4 Depth=1
	s_or_b64 exec, exec, s[2:3]
	v_cmp_nlt_f64_e32 vcc, v[20:21], v[26:27]
	v_lshlrev_b64 v[26:27], 4, v[18:19]
	s_mul_i32 s20, s24, s13
	s_add_i32 s23, s24, 1
	v_mul_f64 v[22:23], v[6:7], v[2:3]
	v_lshl_add_u64 v[20:21], s[4:5], 0, v[26:27]
	v_lshl_add_u64 v[18:19], s[6:7], 0, v[26:27]
	v_add_u32_e32 v24, s20, v8
	s_and_saveexec_b64 s[2:3], vcc
	s_xor_b64 s[2:3], exec, s[2:3]
	s_cbranch_execnz .LBB10_18
; %bb.17:                               ;   in Loop: Header=BB10_4 Depth=1
	s_andn2_saveexec_b64 s[2:3], s[2:3]
	s_cbranch_execz .LBB10_3
	s_branch .LBB10_19
.LBB10_18:                              ;   in Loop: Header=BB10_4 Depth=1
	v_lshl_add_u64 v[14:15], v[14:15], 4, s[6:7]
	global_load_dwordx4 v[14:17], v[14:15], off
	v_ashrrev_i32_e32 v25, 31, v24
	v_lshl_add_u64 v[44:45], v[24:25], 4, s[8:9]
	global_load_dwordx4 v[24:27], v[44:45], off
	global_load_dwordx4 v[36:39], v[20:21], off
	;; [unrolled: 1-line block ×3, first 2 shown]
	s_mul_i32 s24, s23, s13
	v_mul_f64 v[44:45], v[2:3], v[2:3]
	v_mul_f64 v[2:3], v[2:3], -v[4:5]
	s_ashr_i32 s25, s24, 31
	v_fmac_f64_e32 v[44:45], v[0:1], v[0:1]
	v_fmac_f64_e32 v[22:23], v[4:5], v[0:1]
	;; [unrolled: 1-line block ×3, first 2 shown]
	v_lshl_add_u64 v[0:1], s[24:25], 2, v[10:11]
	v_div_scale_f64 v[4:5], s[24:25], v[44:45], v[44:45], 1.0
	v_rcp_f64_e32 v[6:7], v[4:5]
	v_mov_b32_e32 v48, s23
	global_store_dword v[0:1], v48, off
	v_div_scale_f64 v[46:47], vcc, 1.0, v[44:45], 1.0
	v_fma_f64 v[0:1], -v[4:5], v[6:7], 1.0
	v_fmac_f64_e32 v[6:7], v[6:7], v[0:1]
	v_fma_f64 v[0:1], -v[4:5], v[6:7], 1.0
	v_fmac_f64_e32 v[6:7], v[6:7], v[0:1]
	v_mul_f64 v[0:1], v[46:47], v[6:7]
	v_fma_f64 v[4:5], -v[4:5], v[0:1], v[46:47]
	v_div_fmas_f64 v[0:1], v[4:5], v[6:7], v[0:1]
	v_div_fixup_f64 v[4:5], v[0:1], v[44:45], 1.0
	v_mul_f64 v[0:1], v[22:23], v[4:5]
	v_mul_f64 v[2:3], v[2:3], v[4:5]
	global_store_dwordx4 v[12:13], v[0:3], off
                                        ; implicit-def: $vgpr22_vgpr23
	s_waitcnt vmcnt(5)
	v_mul_f64 v[4:5], v[16:17], -v[2:3]
	v_mul_f64 v[6:7], v[0:1], v[16:17]
	v_fmac_f64_e32 v[4:5], v[0:1], v[14:15]
	v_fmac_f64_e32 v[6:7], v[2:3], v[14:15]
	s_waitcnt vmcnt(4)
	v_mul_f64 v[12:13], v[26:27], -v[2:3]
	v_mul_f64 v[14:15], v[0:1], v[26:27]
	v_fmac_f64_e32 v[12:13], v[0:1], v[24:25]
	v_fmac_f64_e32 v[14:15], v[2:3], v[24:25]
	s_waitcnt vmcnt(3)
	v_add_f64 v[4:5], v[36:37], -v[4:5]
	v_add_f64 v[6:7], v[38:39], -v[6:7]
	s_waitcnt vmcnt(2)
	v_add_f64 v[0:1], v[40:41], -v[12:13]
	v_add_f64 v[2:3], v[42:43], -v[14:15]
	global_store_dwordx4 v[20:21], v[4:7], off
	global_store_dwordx4 v[18:19], v[0:3], off
                                        ; implicit-def: $vgpr12_vgpr13
                                        ; implicit-def: $vgpr16_vgpr17
                                        ; implicit-def: $vgpr14_vgpr15
                                        ; implicit-def: $vgpr6_vgpr7
                                        ; implicit-def: $vgpr2_vgpr3
                                        ; implicit-def: $vgpr26_vgpr27
                                        ; implicit-def: $vgpr20_vgpr21
                                        ; implicit-def: $vgpr18_vgpr19
                                        ; implicit-def: $vgpr24
	s_andn2_saveexec_b64 s[2:3], s[2:3]
	s_cbranch_execz .LBB10_3
.LBB10_19:                              ;   in Loop: Header=BB10_4 Depth=1
	v_lshlrev_b64 v[14:15], 4, v[14:15]
	v_ashrrev_i32_e32 v25, 31, v24
	v_lshl_add_u64 v[52:53], s[6:7], 0, v[14:15]
	v_lshl_add_u64 v[54:55], v[24:25], 4, s[8:9]
	global_load_dwordx4 v[36:39], v[20:21], off
	global_load_dwordx4 v[40:43], v[52:53], off
	;; [unrolled: 1-line block ×4, first 2 shown]
	s_ashr_i32 s21, s20, 31
	v_fmac_f64_e32 v[22:23], v[0:1], v[4:5]
	v_mul_f64 v[0:1], v[6:7], -v[0:1]
	v_fmac_f64_e32 v[0:1], v[2:3], v[4:5]
	s_waitcnt vmcnt(3)
	ds_write2_b64 v29, v[36:37], v[38:39] offset1:1
	s_waitcnt vmcnt(2)
	ds_write2_b64 v30, v[40:41], v[42:43] offset1:1
	;; [unrolled: 2-line block ×4, first 2 shown]
	global_store_dwordx4 v[16:17], v[4:7], off
	global_store_dwordx4 v[52:53], v[36:39], off
	;; [unrolled: 1-line block ×5, first 2 shown]
	v_lshl_add_u64 v[16:17], s[20:21], 2, v[10:11]
	global_load_dword v25, v[16:17], off
	v_mov_b32_e32 v36, s23
	global_store_dword v[16:17], v36, off
	v_add_u32_e32 v16, s13, v24
	v_ashrrev_i32_e32 v17, 31, v16
	v_lshl_add_u64 v[16:17], v[16:17], 2, s[10:11]
	v_lshl_add_u64 v[36:37], s[16:17], 0, v[14:15]
	;; [unrolled: 1-line block ×3, first 2 shown]
	s_waitcnt vmcnt(1)
	global_store_dword v[16:17], v25, off
	global_load_dwordx4 v[14:17], v[36:37], off
	s_nop 0
	global_load_dwordx4 v[24:27], v[38:39], off
	s_waitcnt vmcnt(1)
	ds_write2_b64 v9, v[14:15], v[16:17] offset1:1
	s_waitcnt vmcnt(0)
	global_store_dwordx4 v[36:37], v[24:27], off
	global_store_dwordx4 v[38:39], v[14:17], off
	s_nop 1
	v_mul_f64 v[14:15], v[6:7], v[6:7]
	v_fmac_f64_e32 v[14:15], v[4:5], v[4:5]
	v_div_scale_f64 v[16:17], s[20:21], v[14:15], v[14:15], 1.0
	v_rcp_f64_e32 v[24:25], v[16:17]
	s_nop 0
	v_fma_f64 v[26:27], -v[16:17], v[24:25], 1.0
	v_fmac_f64_e32 v[24:25], v[24:25], v[26:27]
	v_fma_f64 v[26:27], -v[16:17], v[24:25], 1.0
	v_fmac_f64_e32 v[24:25], v[24:25], v[26:27]
	v_div_scale_f64 v[26:27], vcc, 1.0, v[14:15], 1.0
	v_mul_f64 v[36:37], v[26:27], v[24:25]
	v_fma_f64 v[16:17], -v[16:17], v[36:37], v[26:27]
	s_nop 1
	v_div_fmas_f64 v[16:17], v[16:17], v[24:25], v[36:37]
	v_div_fixup_f64 v[16:17], v[16:17], v[14:15], 1.0
	v_mul_f64 v[14:15], v[16:17], v[22:23]
	v_mul_f64 v[16:17], v[16:17], v[0:1]
	global_load_dwordx4 v[0:3], v[52:53], off
	s_waitcnt vmcnt(0)
	v_mul_f64 v[4:5], v[2:3], -v[16:17]
	v_mul_f64 v[6:7], v[14:15], v[2:3]
	v_fmac_f64_e32 v[4:5], v[14:15], v[0:1]
	v_fmac_f64_e32 v[6:7], v[16:17], v[0:1]
	global_load_dwordx4 v[0:3], v[20:21], off
	s_waitcnt vmcnt(0)
	v_add_f64 v[0:1], v[0:1], -v[4:5]
	v_add_f64 v[2:3], v[2:3], -v[6:7]
	global_store_dwordx4 v[20:21], v[0:3], off
	global_load_dwordx4 v[0:3], v[54:55], off
	s_waitcnt vmcnt(0)
	v_mul_f64 v[4:5], v[2:3], -v[16:17]
	v_mul_f64 v[6:7], v[14:15], v[2:3]
	v_fmac_f64_e32 v[4:5], v[14:15], v[0:1]
	v_fmac_f64_e32 v[6:7], v[16:17], v[0:1]
	global_load_dwordx4 v[0:3], v[18:19], off
	s_waitcnt vmcnt(0)
	v_add_f64 v[0:1], v[0:1], -v[4:5]
	v_add_f64 v[2:3], v[2:3], -v[6:7]
	global_store_dwordx4 v[12:13], v[14:17], off
	global_store_dwordx4 v[18:19], v[0:3], off
	s_branch .LBB10_3
.LBB10_20:
	s_mov_b32 s20, 1
	v_mov_b32_e32 v4, 0
	s_branch .LBB10_23
.LBB10_21:                              ;   in Loop: Header=BB10_23 Depth=1
	s_or_b64 exec, exec, s[2:3]
	s_mul_i32 s2, s20, s14
	v_add_u32_e32 v4, s2, v8
	v_ashrrev_i32_e32 v5, 31, v4
	v_lshl_add_u64 v[12:13], v[4:5], 4, s[16:17]
	global_load_dwordx4 v[4:7], v[12:13], off
	s_waitcnt vmcnt(0)
	v_add_f64 v[2:3], v[2:3], v[4:5]
	v_add_f64 v[4:5], v[0:1], v[6:7]
	global_store_dwordx4 v[12:13], v[2:5], off
	s_nop 1
	v_mov_b32_e32 v4, s20
.LBB10_22:                              ;   in Loop: Header=BB10_23 Depth=1
	s_or_b64 exec, exec, s[0:1]
	s_add_i32 s20, s20, 1
	s_cmp_eq_u32 s20, s12
	s_cbranch_scc1 .LBB10_28
.LBB10_23:                              ; =>This Loop Header: Depth=1
                                        ;     Child Loop BB10_26 Depth 2
	s_mul_i32 s0, s20, s13
	s_ashr_i32 s1, s0, 31
	v_lshl_add_u64 v[0:1], s[0:1], 2, v[10:11]
	global_load_dword v0, v[0:1], off
	s_waitcnt vmcnt(0)
	v_cmp_ge_i32_e32 vcc, s20, v0
	s_and_saveexec_b64 s[0:1], vcc
	s_cbranch_execz .LBB10_22
; %bb.24:                               ;   in Loop: Header=BB10_23 Depth=1
	v_cmp_gt_u32_e32 vcc, s20, v4
	v_mov_b64_e32 v[0:1], 0
	v_mov_b64_e32 v[2:3], 0
	s_and_saveexec_b64 s[2:3], vcc
	s_cbranch_execz .LBB10_21
; %bb.25:                               ;   in Loop: Header=BB10_23 Depth=1
	v_mul_lo_u32 v5, s14, v4
	v_add_u32_e32 v6, s14, v5
	v_mov_b64_e32 v[0:1], 0
	s_mov_b64 s[10:11], 0
	v_mov_b32_e32 v7, v8
	v_mov_b64_e32 v[2:3], 0
.LBB10_26:                              ;   Parent Loop BB10_23 Depth=1
                                        ; =>  This Inner Loop Header: Depth=2
	v_add_u32_e32 v14, v5, v7
	v_add_u32_e32 v12, v6, v7
	v_ashrrev_i32_e32 v15, 31, v14
	v_ashrrev_i32_e32 v13, 31, v12
	v_lshl_add_u64 v[22:23], v[14:15], 4, s[16:17]
	v_lshl_add_u64 v[20:21], v[12:13], 4, s[18:19]
	global_load_dwordx4 v[12:15], v[22:23], off
	global_load_dwordx4 v[16:19], v[20:21], off
	v_add_u32_e32 v4, 1, v4
	v_cmp_le_u32_e32 vcc, s20, v4
	v_add_u32_e32 v7, s14, v7
	s_or_b64 s[10:11], vcc, s[10:11]
	s_waitcnt vmcnt(0)
	v_mul_f64 v[20:21], v[14:15], -v[18:19]
	v_mul_f64 v[14:15], v[14:15], v[16:17]
	v_fmac_f64_e32 v[20:21], v[16:17], v[12:13]
	v_fmac_f64_e32 v[14:15], v[18:19], v[12:13]
	v_add_f64 v[2:3], v[2:3], -v[20:21]
	v_add_f64 v[0:1], v[0:1], -v[14:15]
	s_andn2_b64 exec, exec, s[10:11]
	s_cbranch_execnz .LBB10_26
; %bb.27:                               ;   in Loop: Header=BB10_23 Depth=1
	s_or_b64 exec, exec, s[10:11]
	s_branch .LBB10_21
.LBB10_28:
	s_mul_i32 s0, s14, s22
	v_add_u32_e32 v0, s0, v8
	v_ashrrev_i32_e32 v1, 31, v0
	v_lshlrev_b64 v[0:1], 4, v[0:1]
	v_lshl_add_u64 v[10:11], s[4:5], 0, v[0:1]
	v_lshl_add_u64 v[18:19], s[16:17], 0, v[0:1]
	global_load_dwordx4 v[0:3], v[10:11], off
	global_load_dwordx4 v[4:7], v[18:19], off
	s_sub_i32 s1, s0, s14
	v_add_u32_e32 v10, s1, v8
	v_ashrrev_i32_e32 v11, 31, v10
	v_lshlrev_b64 v[10:11], 4, v[10:11]
	v_lshl_add_u64 v[22:23], s[6:7], 0, v[10:11]
	v_lshl_add_u64 v[20:21], s[16:17], 0, v[10:11]
	;; [unrolled: 1-line block ×3, first 2 shown]
	global_load_dwordx4 v[10:13], v[22:23], off
	global_load_dwordx4 v[14:17], v[24:25], off
	s_cmp_lt_i32 s12, 3
	s_waitcnt vmcnt(3)
	v_mul_f64 v[22:23], v[2:3], v[2:3]
	s_waitcnt vmcnt(2)
	v_mul_f64 v[24:25], v[2:3], v[6:7]
	v_fmac_f64_e32 v[22:23], v[0:1], v[0:1]
	v_mul_f64 v[2:3], v[2:3], -v[4:5]
	v_fmac_f64_e32 v[24:25], v[4:5], v[0:1]
	v_div_scale_f64 v[4:5], s[2:3], v[22:23], v[22:23], 1.0
	v_rcp_f64_e32 v[26:27], v[4:5]
	v_fmac_f64_e32 v[2:3], v[6:7], v[0:1]
	v_div_scale_f64 v[0:1], vcc, 1.0, v[22:23], 1.0
	v_fma_f64 v[6:7], -v[4:5], v[26:27], 1.0
	v_fmac_f64_e32 v[26:27], v[26:27], v[6:7]
	v_fma_f64 v[6:7], -v[4:5], v[26:27], 1.0
	v_fmac_f64_e32 v[26:27], v[26:27], v[6:7]
	v_mul_f64 v[6:7], v[0:1], v[26:27]
	v_fma_f64 v[0:1], -v[4:5], v[6:7], v[0:1]
	v_div_fmas_f64 v[0:1], v[0:1], v[26:27], v[6:7]
	v_div_fixup_f64 v[4:5], v[0:1], v[22:23], 1.0
	v_mul_f64 v[0:1], v[4:5], v[24:25]
	v_mul_f64 v[2:3], v[4:5], v[2:3]
	global_store_dwordx4 v[18:19], v[0:3], off
	global_load_dwordx4 v[4:7], v[20:21], off
	s_waitcnt vmcnt(2)
	v_mul_f64 v[18:19], v[16:17], v[16:17]
	v_fmac_f64_e32 v[18:19], v[14:15], v[14:15]
	v_div_scale_f64 v[22:23], s[2:3], v[18:19], v[18:19], 1.0
	v_rcp_f64_e32 v[24:25], v[22:23]
	v_div_scale_f64 v[26:27], vcc, 1.0, v[18:19], 1.0
	v_fma_f64 v[30:31], -v[22:23], v[24:25], 1.0
	v_fmac_f64_e32 v[24:25], v[24:25], v[30:31]
	v_fma_f64 v[30:31], -v[22:23], v[24:25], 1.0
	v_fmac_f64_e32 v[24:25], v[24:25], v[30:31]
	v_mul_f64 v[30:31], v[26:27], v[24:25]
	v_fma_f64 v[22:23], -v[22:23], v[30:31], v[26:27]
	v_div_fmas_f64 v[22:23], v[22:23], v[24:25], v[30:31]
	v_div_fixup_f64 v[18:19], v[22:23], v[18:19], 1.0
	v_mul_f64 v[22:23], v[2:3], -v[12:13]
	v_mul_f64 v[2:3], v[2:3], v[10:11]
	v_fmac_f64_e32 v[22:23], v[10:11], v[0:1]
	v_fmac_f64_e32 v[2:3], v[12:13], v[0:1]
	s_waitcnt vmcnt(0)
	v_add_f64 v[0:1], v[4:5], -v[22:23]
	v_add_f64 v[2:3], v[6:7], -v[2:3]
	v_mul_f64 v[4:5], v[2:3], v[16:17]
	v_mul_f64 v[6:7], v[16:17], -v[0:1]
	v_fmac_f64_e32 v[4:5], v[0:1], v[14:15]
	v_fmac_f64_e32 v[6:7], v[2:3], v[14:15]
	v_mul_f64 v[0:1], v[4:5], v[18:19]
	v_mul_f64 v[2:3], v[6:7], v[18:19]
	global_store_dwordx4 v[20:21], v[0:3], off
	s_cbranch_scc1 .LBB10_31
; %bb.29:
	s_add_i32 s3, s12, -3
	s_mul_i32 s2, s13, s3
	s_add_i32 s1, s12, -2
	s_add_i32 s15, s15, s2
	v_add_u32_e32 v0, s15, v28
	s_mul_i32 s2, s14, s1
	s_mul_i32 s3, s14, s3
.LBB10_30:                              ; =>This Inner Loop Header: Depth=1
	s_nop 0
	v_add_u32_e32 v4, s2, v8
	v_add_u32_e32 v2, s3, v8
	;; [unrolled: 1-line block ×3, first 2 shown]
	v_ashrrev_i32_e32 v1, 31, v0
	v_ashrrev_i32_e32 v5, 31, v4
	v_ashrrev_i32_e32 v3, 31, v2
	v_lshl_add_u64 v[10:11], v[0:1], 4, s[8:9]
	v_ashrrev_i32_e32 v7, 31, v6
	v_lshl_add_u64 v[20:21], v[4:5], 4, s[16:17]
	v_lshlrev_b64 v[18:19], 4, v[2:3]
	v_lshl_add_u64 v[6:7], v[6:7], 4, s[16:17]
	global_load_dwordx4 v[2:5], v[10:11], off
	s_nop 0
	global_load_dwordx4 v[10:13], v[20:21], off
	global_load_dwordx4 v[14:17], v[6:7], off
	v_lshl_add_u64 v[32:33], s[6:7], 0, v[18:19]
	v_lshl_add_u64 v[30:31], s[16:17], 0, v[18:19]
	;; [unrolled: 1-line block ×3, first 2 shown]
	global_load_dwordx4 v[18:21], v[32:33], off
	global_load_dwordx4 v[22:25], v[6:7], off
	;; [unrolled: 1-line block ×3, first 2 shown]
	s_add_i32 s1, s1, -1
	v_subrev_u32_e32 v8, s14, v8
	v_subrev_u32_e32 v0, s13, v0
	s_cmp_lg_u32 s1, 0
	s_waitcnt vmcnt(3)
	v_mul_f64 v[6:7], v[16:17], -v[4:5]
	v_mul_f64 v[16:17], v[16:17], v[2:3]
	s_waitcnt vmcnt(2)
	v_mul_f64 v[32:33], v[12:13], -v[20:21]
	v_mul_f64 v[12:13], v[12:13], v[18:19]
	v_fmac_f64_e32 v[6:7], v[2:3], v[14:15]
	s_waitcnt vmcnt(1)
	v_mul_f64 v[2:3], v[24:25], v[24:25]
	v_fmac_f64_e32 v[32:33], v[18:19], v[10:11]
	v_fmac_f64_e32 v[12:13], v[20:21], v[10:11]
	;; [unrolled: 1-line block ×4, first 2 shown]
	s_waitcnt vmcnt(0)
	v_add_f64 v[4:5], v[26:27], -v[32:33]
	v_add_f64 v[10:11], v[28:29], -v[12:13]
	v_div_scale_f64 v[12:13], s[10:11], v[2:3], v[2:3], 1.0
	v_add_f64 v[4:5], v[4:5], -v[6:7]
	v_add_f64 v[6:7], v[10:11], -v[16:17]
	v_rcp_f64_e32 v[10:11], v[12:13]
	v_mul_f64 v[16:17], v[24:25], v[6:7]
	v_mul_f64 v[18:19], v[24:25], -v[4:5]
	v_fmac_f64_e32 v[16:17], v[4:5], v[22:23]
	v_fma_f64 v[4:5], -v[12:13], v[10:11], 1.0
	v_fmac_f64_e32 v[10:11], v[10:11], v[4:5]
	v_fma_f64 v[4:5], -v[12:13], v[10:11], 1.0
	v_div_scale_f64 v[14:15], vcc, 1.0, v[2:3], 1.0
	v_fmac_f64_e32 v[10:11], v[10:11], v[4:5]
	v_mul_f64 v[4:5], v[14:15], v[10:11]
	v_fmac_f64_e32 v[18:19], v[6:7], v[22:23]
	v_fma_f64 v[6:7], -v[12:13], v[4:5], v[14:15]
	v_div_fmas_f64 v[4:5], v[6:7], v[10:11], v[4:5]
	v_div_fixup_f64 v[4:5], v[4:5], v[2:3], 1.0
	v_mul_f64 v[2:3], v[16:17], v[4:5]
	v_mul_f64 v[4:5], v[4:5], v[18:19]
	global_store_dwordx4 v[30:31], v[2:5], off
	s_cbranch_scc1 .LBB10_30
.LBB10_31:
	s_endpgm
	.section	.rodata,"a",@progbits
	.p2align	6, 0x0
	.amdhsa_kernel _ZN9rocsparseL32gtsv_interleaved_batch_lu_kernelILj128E21rocsparse_complex_numIdEEEviiiPT0_S4_S4_S4_PiS4_
		.amdhsa_group_segment_fixed_size 10240
		.amdhsa_private_segment_fixed_size 0
		.amdhsa_kernarg_size 64
		.amdhsa_user_sgpr_count 4
		.amdhsa_user_sgpr_dispatch_ptr 1
		.amdhsa_user_sgpr_queue_ptr 0
		.amdhsa_user_sgpr_kernarg_segment_ptr 1
		.amdhsa_user_sgpr_dispatch_id 0
		.amdhsa_user_sgpr_kernarg_preload_length 0
		.amdhsa_user_sgpr_kernarg_preload_offset 0
		.amdhsa_user_sgpr_private_segment_size 0
		.amdhsa_uses_dynamic_stack 0
		.amdhsa_enable_private_segment 0
		.amdhsa_system_sgpr_workgroup_id_x 1
		.amdhsa_system_sgpr_workgroup_id_y 0
		.amdhsa_system_sgpr_workgroup_id_z 0
		.amdhsa_system_sgpr_workgroup_info 0
		.amdhsa_system_vgpr_workitem_id 2
		.amdhsa_next_free_vgpr 56
		.amdhsa_next_free_sgpr 28
		.amdhsa_accum_offset 56
		.amdhsa_reserve_vcc 1
		.amdhsa_float_round_mode_32 0
		.amdhsa_float_round_mode_16_64 0
		.amdhsa_float_denorm_mode_32 3
		.amdhsa_float_denorm_mode_16_64 3
		.amdhsa_dx10_clamp 1
		.amdhsa_ieee_mode 1
		.amdhsa_fp16_overflow 0
		.amdhsa_tg_split 0
		.amdhsa_exception_fp_ieee_invalid_op 0
		.amdhsa_exception_fp_denorm_src 0
		.amdhsa_exception_fp_ieee_div_zero 0
		.amdhsa_exception_fp_ieee_overflow 0
		.amdhsa_exception_fp_ieee_underflow 0
		.amdhsa_exception_fp_ieee_inexact 0
		.amdhsa_exception_int_div_zero 0
	.end_amdhsa_kernel
	.section	.text._ZN9rocsparseL32gtsv_interleaved_batch_lu_kernelILj128E21rocsparse_complex_numIdEEEviiiPT0_S4_S4_S4_PiS4_,"axG",@progbits,_ZN9rocsparseL32gtsv_interleaved_batch_lu_kernelILj128E21rocsparse_complex_numIdEEEviiiPT0_S4_S4_S4_PiS4_,comdat
.Lfunc_end10:
	.size	_ZN9rocsparseL32gtsv_interleaved_batch_lu_kernelILj128E21rocsparse_complex_numIdEEEviiiPT0_S4_S4_S4_PiS4_, .Lfunc_end10-_ZN9rocsparseL32gtsv_interleaved_batch_lu_kernelILj128E21rocsparse_complex_numIdEEEviiiPT0_S4_S4_S4_PiS4_
                                        ; -- End function
	.set _ZN9rocsparseL32gtsv_interleaved_batch_lu_kernelILj128E21rocsparse_complex_numIdEEEviiiPT0_S4_S4_S4_PiS4_.num_vgpr, 56
	.set _ZN9rocsparseL32gtsv_interleaved_batch_lu_kernelILj128E21rocsparse_complex_numIdEEEviiiPT0_S4_S4_S4_PiS4_.num_agpr, 0
	.set _ZN9rocsparseL32gtsv_interleaved_batch_lu_kernelILj128E21rocsparse_complex_numIdEEEviiiPT0_S4_S4_S4_PiS4_.numbered_sgpr, 28
	.set _ZN9rocsparseL32gtsv_interleaved_batch_lu_kernelILj128E21rocsparse_complex_numIdEEEviiiPT0_S4_S4_S4_PiS4_.num_named_barrier, 0
	.set _ZN9rocsparseL32gtsv_interleaved_batch_lu_kernelILj128E21rocsparse_complex_numIdEEEviiiPT0_S4_S4_S4_PiS4_.private_seg_size, 0
	.set _ZN9rocsparseL32gtsv_interleaved_batch_lu_kernelILj128E21rocsparse_complex_numIdEEEviiiPT0_S4_S4_S4_PiS4_.uses_vcc, 1
	.set _ZN9rocsparseL32gtsv_interleaved_batch_lu_kernelILj128E21rocsparse_complex_numIdEEEviiiPT0_S4_S4_S4_PiS4_.uses_flat_scratch, 0
	.set _ZN9rocsparseL32gtsv_interleaved_batch_lu_kernelILj128E21rocsparse_complex_numIdEEEviiiPT0_S4_S4_S4_PiS4_.has_dyn_sized_stack, 0
	.set _ZN9rocsparseL32gtsv_interleaved_batch_lu_kernelILj128E21rocsparse_complex_numIdEEEviiiPT0_S4_S4_S4_PiS4_.has_recursion, 0
	.set _ZN9rocsparseL32gtsv_interleaved_batch_lu_kernelILj128E21rocsparse_complex_numIdEEEviiiPT0_S4_S4_S4_PiS4_.has_indirect_call, 0
	.section	.AMDGPU.csdata,"",@progbits
; Kernel info:
; codeLenInByte = 3464
; TotalNumSgprs: 34
; NumVgprs: 56
; NumAgprs: 0
; TotalNumVgprs: 56
; ScratchSize: 0
; MemoryBound: 0
; FloatMode: 240
; IeeeMode: 1
; LDSByteSize: 10240 bytes/workgroup (compile time only)
; SGPRBlocks: 4
; VGPRBlocks: 6
; NumSGPRsForWavesPerEU: 34
; NumVGPRsForWavesPerEU: 56
; AccumOffset: 56
; Occupancy: 8
; WaveLimiterHint : 0
; COMPUTE_PGM_RSRC2:SCRATCH_EN: 0
; COMPUTE_PGM_RSRC2:USER_SGPR: 4
; COMPUTE_PGM_RSRC2:TRAP_HANDLER: 0
; COMPUTE_PGM_RSRC2:TGID_X_EN: 1
; COMPUTE_PGM_RSRC2:TGID_Y_EN: 0
; COMPUTE_PGM_RSRC2:TGID_Z_EN: 0
; COMPUTE_PGM_RSRC2:TIDIG_COMP_CNT: 2
; COMPUTE_PGM_RSRC3_GFX90A:ACCUM_OFFSET: 13
; COMPUTE_PGM_RSRC3_GFX90A:TG_SPLIT: 0
	.section	.text._ZN9rocsparseL32gtsv_interleaved_batch_qr_kernelILj128E21rocsparse_complex_numIdEEEviiiPKT0_PS3_S6_S6_S6_,"axG",@progbits,_ZN9rocsparseL32gtsv_interleaved_batch_qr_kernelILj128E21rocsparse_complex_numIdEEEviiiPKT0_PS3_S6_S6_S6_,comdat
	.globl	_ZN9rocsparseL32gtsv_interleaved_batch_qr_kernelILj128E21rocsparse_complex_numIdEEEviiiPKT0_PS3_S6_S6_S6_ ; -- Begin function _ZN9rocsparseL32gtsv_interleaved_batch_qr_kernelILj128E21rocsparse_complex_numIdEEEviiiPKT0_PS3_S6_S6_S6_
	.p2align	8
	.type	_ZN9rocsparseL32gtsv_interleaved_batch_qr_kernelILj128E21rocsparse_complex_numIdEEEviiiPKT0_PS3_S6_S6_S6_,@function
_ZN9rocsparseL32gtsv_interleaved_batch_qr_kernelILj128E21rocsparse_complex_numIdEEEviiiPKT0_PS3_S6_S6_S6_: ; @_ZN9rocsparseL32gtsv_interleaved_batch_qr_kernelILj128E21rocsparse_complex_numIdEEEviiiPKT0_PS3_S6_S6_S6_
; %bb.0:
	s_load_dwordx4 s[12:15], s[0:1], 0x0
	s_waitcnt lgkmcnt(0)
	s_lshl_b32 s15, s2, 7
	v_or_b32_e32 v22, s15, v0
	v_cmp_gt_i32_e32 vcc, s13, v22
	s_and_saveexec_b64 s[2:3], vcc
	s_cbranch_execz .LBB11_13
; %bb.1:
	s_load_dwordx8 s[4:11], s[0:1], 0x18
	s_add_i32 s22, s12, -1
	s_cmp_lt_i32 s12, 2
	s_cbranch_scc1 .LBB11_10
; %bb.2:
	v_ashrrev_i32_e32 v23, 31, v22
	v_lshlrev_b64 v[6:7], 4, v[22:23]
	s_waitcnt lgkmcnt(0)
	v_lshl_add_u64 v[2:3], s[4:5], 0, v[6:7]
	v_lshl_add_u64 v[6:7], s[6:7], 0, v[6:7]
	global_load_dwordx4 v[2:5], v[2:3], off
	s_load_dwordx2 s[0:1], s[0:1], 0x10
	global_load_dwordx4 v[6:9], v[6:7], off
	s_mov_b32 s2, 0
	s_mov_b32 s16, 0
	s_brev_b32 s3, 8
	v_mov_b32_e32 v1, 0x260
	s_brev_b32 s17, 1
	v_mov_b32_e32 v23, 0x100
	v_mov_b32_e32 v42, 0xffffff80
	v_mov_b32_e32 v32, v22
	s_mov_b32 s23, s22
	v_mov_b32_e32 v24, v22
	s_branch .LBB11_4
.LBB11_3:                               ;   in Loop: Header=BB11_4 Depth=1
	s_or_b64 exec, exec, s[18:19]
	v_cmp_gt_f64_e32 vcc, s[2:3], v[38:39]
	v_ashrrev_i32_e32 v33, 31, v32
	v_lshlrev_b64 v[44:45], 4, v[32:33]
	v_cndmask_b32_e32 v25, 0, v23, vcc
	v_ldexp_f64 v[40:41], v[38:39], v25
	v_rsq_f64_e32 v[34:35], v[40:41]
	v_lshl_add_u64 v[52:53], s[10:11], 0, v[44:45]
	v_lshl_add_u64 v[54:55], v[26:27], 4, s[10:11]
	v_cndmask_b32_e32 v25, 0, v42, vcc
	v_mul_f64 v[46:47], v[40:41], v[34:35]
	v_mul_f64 v[48:49], v[34:35], 0.5
	v_fma_f64 v[32:33], -v[48:49], v[46:47], 0.5
	v_fmac_f64_e32 v[46:47], v[46:47], v[32:33]
	v_fmac_f64_e32 v[48:49], v[48:49], v[32:33]
	global_load_dwordx4 v[32:35], v[52:53], off
	global_load_dwordx4 v[36:39], v[54:55], off
	v_fma_f64 v[50:51], -v[46:47], v[46:47], v[40:41]
	v_fmac_f64_e32 v[46:47], v[50:51], v[48:49]
	v_fma_f64 v[50:51], -v[46:47], v[46:47], v[40:41]
	v_fmac_f64_e32 v[46:47], v[50:51], v[48:49]
	v_ldexp_f64 v[46:47], v[46:47], v25
	v_cmp_class_f64_e32 vcc, v[40:41], v1
	v_lshl_add_u64 v[60:61], s[6:7], 0, v[44:45]
	v_ashrrev_i32_e32 v25, 31, v24
	v_cndmask_b32_e32 v41, v47, v41, vcc
	v_cndmask_b32_e32 v40, v46, v40, vcc
	v_fma_f64 v[46:47], v[40:41], v[40:41], 0
	v_div_scale_f64 v[48:49], s[18:19], v[46:47], v[46:47], 1.0
	v_rcp_f64_e32 v[50:51], v[48:49]
	s_add_i32 s23, s23, -1
	s_cmp_eq_u32 s23, 0
	v_fma_f64 v[56:57], -v[48:49], v[50:51], 1.0
	v_fmac_f64_e32 v[50:51], v[50:51], v[56:57]
	v_fma_f64 v[56:57], -v[48:49], v[50:51], 1.0
	v_fmac_f64_e32 v[50:51], v[50:51], v[56:57]
	v_div_scale_f64 v[56:57], vcc, 1.0, v[46:47], 1.0
	v_mul_f64 v[58:59], v[56:57], v[50:51]
	v_fma_f64 v[48:49], -v[48:49], v[58:59], v[56:57]
	s_nop 1
	v_div_fmas_f64 v[48:49], v[48:49], v[50:51], v[58:59]
	v_div_fixup_f64 v[48:49], v[48:49], v[46:47], 1.0
	v_mul_f64 v[46:47], v[20:21], s[16:17]
	v_fmac_f64_e32 v[46:47], v[18:19], v[40:41]
	v_mul_f64 v[50:51], v[46:47], v[48:49]
	v_mul_f64 v[46:47], v[18:19], s[16:17]
	v_fma_f64 v[46:47], -v[20:21], v[40:41], v[46:47]
	v_mul_f64 v[56:57], v[46:47], v[48:49]
	v_mul_f64 v[58:59], v[56:57], -v[20:21]
	v_fmac_f64_e32 v[58:59], v[18:19], v[50:51]
	v_mul_f64 v[46:47], v[18:19], v[56:57]
	v_mul_f64 v[18:19], v[4:5], s[16:17]
	v_fmac_f64_e32 v[46:47], v[20:21], v[50:51]
	v_fmac_f64_e32 v[18:19], v[2:3], v[40:41]
	v_mul_f64 v[20:21], v[2:3], s[16:17]
	v_fma_f64 v[20:21], -v[4:5], v[40:41], v[20:21]
	v_mul_f64 v[62:63], v[18:19], v[48:49]
	v_mul_f64 v[20:21], v[20:21], v[48:49]
	v_fmac_f64_e32 v[58:59], v[2:3], v[62:63]
	v_fmac_f64_e32 v[46:47], v[4:5], v[62:63]
	v_lshl_add_u64 v[40:41], s[4:5], 0, v[44:45]
	v_fma_f64 v[44:45], -v[4:5], v[20:21], v[58:59]
	v_fmac_f64_e32 v[46:47], v[2:3], v[20:21]
	s_waitcnt vmcnt(3)
	v_mul_f64 v[2:3], v[16:17], v[20:21]
	v_mul_f64 v[4:5], v[14:15], -v[20:21]
	v_fmac_f64_e32 v[2:3], v[14:15], v[62:63]
	v_fmac_f64_e32 v[4:5], v[16:17], v[62:63]
	v_fma_f64 v[2:3], -v[6:7], v[50:51], v[2:3]
	v_fma_f64 v[4:5], -v[8:9], v[50:51], v[4:5]
	v_fma_f64 v[2:3], v[8:9], -v[56:57], v[2:3]
	v_fmac_f64_e32 v[4:5], v[6:7], v[56:57]
	global_store_dwordx4 v[40:41], v[44:47], off
	global_store_dwordx4 v[30:31], v[2:5], off
	v_mul_f64 v[30:31], v[56:57], -v[16:17]
	v_mul_f64 v[18:19], v[14:15], v[56:57]
	v_fmac_f64_e32 v[30:31], v[14:15], v[50:51]
	v_fmac_f64_e32 v[18:19], v[16:17], v[50:51]
	;; [unrolled: 1-line block ×4, first 2 shown]
	v_fma_f64 v[16:17], -v[8:9], v[20:21], v[30:31]
	v_fmac_f64_e32 v[18:19], v[6:7], v[20:21]
	global_store_dwordx4 v[60:61], v[16:19], off
	s_waitcnt vmcnt(5)
	v_mul_f64 v[6:7], v[12:13], v[20:21]
	v_mul_f64 v[14:15], v[56:57], -v[12:13]
	v_mul_f64 v[16:17], v[10:11], v[56:57]
	v_fmac_f64_e32 v[6:7], v[10:11], v[62:63]
	v_mul_f64 v[8:9], v[10:11], -v[20:21]
	v_fmac_f64_e32 v[14:15], v[10:11], v[50:51]
	v_fmac_f64_e32 v[16:17], v[12:13], v[50:51]
	v_lshl_add_u64 v[10:11], v[24:25], 4, s[8:9]
	v_fmac_f64_e32 v[8:9], v[12:13], v[62:63]
	global_store_dwordx4 v[10:11], v[14:17], off
	v_add_u32_e32 v24, s13, v24
	s_waitcnt vmcnt(4)
	v_mul_f64 v[10:11], v[56:57], -v[38:39]
	v_mul_f64 v[12:13], v[56:57], v[36:37]
	v_fmac_f64_e32 v[10:11], v[36:37], v[50:51]
	v_fmac_f64_e32 v[12:13], v[38:39], v[50:51]
	v_fmac_f64_e32 v[10:11], v[32:33], v[62:63]
	v_fmac_f64_e32 v[12:13], v[34:35], v[62:63]
	v_fma_f64 v[10:11], -v[34:35], v[20:21], v[10:11]
	v_fmac_f64_e32 v[12:13], v[32:33], v[20:21]
	global_store_dwordx4 v[52:53], v[10:13], off
	global_store_dwordx4 v[28:29], v[6:9], off
	s_nop 0
	v_mul_f64 v[10:11], v[20:21], v[38:39]
	v_mul_f64 v[12:13], v[36:37], -v[20:21]
	v_fmac_f64_e32 v[10:11], v[36:37], v[62:63]
	v_fmac_f64_e32 v[12:13], v[38:39], v[62:63]
	v_fma_f64 v[10:11], -v[32:33], v[50:51], v[10:11]
	v_fma_f64 v[12:13], -v[34:35], v[50:51], v[12:13]
	v_fma_f64 v[10:11], v[34:35], -v[56:57], v[10:11]
	v_fmac_f64_e32 v[12:13], v[32:33], v[56:57]
	v_mov_b32_e32 v32, v26
	global_store_dwordx4 v[54:55], v[10:13], off
	s_cbranch_scc1 .LBB11_10
.LBB11_4:                               ; =>This Inner Loop Header: Depth=1
	v_add_u32_e32 v26, s14, v32
	v_ashrrev_i32_e32 v27, 31, v26
	v_lshlrev_b64 v[10:11], 4, v[26:27]
	s_waitcnt lgkmcnt(0)
	v_lshl_add_u64 v[12:13], s[0:1], 0, v[10:11]
	global_load_dwordx4 v[18:21], v[12:13], off
	v_lshl_add_u64 v[30:31], s[4:5], 0, v[10:11]
	v_lshl_add_u64 v[28:29], s[6:7], 0, v[10:11]
	global_load_dwordx4 v[14:17], v[30:31], off
	global_load_dwordx4 v[10:13], v[28:29], off
	s_waitcnt vmcnt(4)
	v_mul_f64 v[36:37], v[2:3], -v[4:5]
	v_fmac_f64_e32 v[36:37], v[4:5], v[2:3]
	v_mul_f64 v[34:35], v[4:5], v[4:5]
	v_fmac_f64_e32 v[34:35], v[2:3], v[2:3]
	s_waitcnt vmcnt(2)
	v_mul_f64 v[40:41], v[18:19], -v[20:21]
	v_fmac_f64_e32 v[40:41], v[20:21], v[18:19]
	v_mul_f64 v[38:39], v[20:21], v[20:21]
	v_add_f64 v[40:41], v[40:41], v[36:37]
	v_fmac_f64_e32 v[38:39], v[18:19], v[18:19]
	v_xor_b32_e32 v25, 0x80000000, v41
	v_cmp_gt_f64_e32 vcc, 0, v[40:41]
	v_add_f64 v[34:35], v[38:39], v[34:35]
	v_mov_b32_e32 v36, v40
	v_cndmask_b32_e32 v37, v41, v25, vcc
	v_cmp_ngt_f64_e32 vcc, v[34:35], v[36:37]
                                        ; implicit-def: $vgpr38_vgpr39
	s_and_saveexec_b64 s[18:19], vcc
	s_xor_b64 s[18:19], exec, s[18:19]
	s_cbranch_execz .LBB11_8
; %bb.5:                                ;   in Loop: Header=BB11_4 Depth=1
	v_mov_b64_e32 v[38:39], 0
	v_cmp_neq_f64_e32 vcc, 0, v[40:41]
	s_and_saveexec_b64 s[20:21], vcc
	s_cbranch_execz .LBB11_7
; %bb.6:                                ;   in Loop: Header=BB11_4 Depth=1
	v_div_scale_f64 v[38:39], s[24:25], v[36:37], v[36:37], v[34:35]
	v_rcp_f64_e32 v[40:41], v[38:39]
	v_div_scale_f64 v[44:45], vcc, v[34:35], v[36:37], v[34:35]
	v_fma_f64 v[46:47], -v[38:39], v[40:41], 1.0
	v_fmac_f64_e32 v[40:41], v[40:41], v[46:47]
	v_fma_f64 v[46:47], -v[38:39], v[40:41], 1.0
	v_fmac_f64_e32 v[40:41], v[40:41], v[46:47]
	v_mul_f64 v[46:47], v[44:45], v[40:41]
	v_fma_f64 v[38:39], -v[38:39], v[46:47], v[44:45]
	v_div_fmas_f64 v[38:39], v[38:39], v[40:41], v[46:47]
	v_div_fixup_f64 v[34:35], v[38:39], v[36:37], v[34:35]
	v_fma_f64 v[34:35], v[34:35], v[34:35], 1.0
	v_cmp_gt_f64_e32 vcc, s[2:3], v[34:35]
	s_nop 1
	v_cndmask_b32_e32 v25, 0, v23, vcc
	v_ldexp_f64 v[34:35], v[34:35], v25
	v_rsq_f64_e32 v[38:39], v[34:35]
	v_cndmask_b32_e32 v25, 0, v42, vcc
	v_cmp_class_f64_e32 vcc, v[34:35], v1
	v_mul_f64 v[40:41], v[34:35], v[38:39]
	v_mul_f64 v[38:39], v[38:39], 0.5
	v_fma_f64 v[44:45], -v[38:39], v[40:41], 0.5
	v_fmac_f64_e32 v[40:41], v[40:41], v[44:45]
	v_fma_f64 v[46:47], -v[40:41], v[40:41], v[34:35]
	v_fmac_f64_e32 v[38:39], v[38:39], v[44:45]
	v_fmac_f64_e32 v[40:41], v[46:47], v[38:39]
	v_fma_f64 v[44:45], -v[40:41], v[40:41], v[34:35]
	v_fmac_f64_e32 v[40:41], v[44:45], v[38:39]
	v_ldexp_f64 v[38:39], v[40:41], v25
	v_cndmask_b32_e32 v35, v39, v35, vcc
	v_cndmask_b32_e32 v34, v38, v34, vcc
	v_mul_f64 v[38:39], v[36:37], v[34:35]
.LBB11_7:                               ;   in Loop: Header=BB11_4 Depth=1
	s_or_b64 exec, exec, s[20:21]
                                        ; implicit-def: $vgpr34_vgpr35
                                        ; implicit-def: $vgpr36_vgpr37
.LBB11_8:                               ;   in Loop: Header=BB11_4 Depth=1
	s_andn2_saveexec_b64 s[18:19], s[18:19]
	s_cbranch_execz .LBB11_3
; %bb.9:                                ;   in Loop: Header=BB11_4 Depth=1
	v_div_scale_f64 v[38:39], s[20:21], v[34:35], v[34:35], v[36:37]
	v_rcp_f64_e32 v[40:41], v[38:39]
	v_div_scale_f64 v[44:45], vcc, v[36:37], v[34:35], v[36:37]
	v_fma_f64 v[46:47], -v[38:39], v[40:41], 1.0
	v_fmac_f64_e32 v[40:41], v[40:41], v[46:47]
	v_fma_f64 v[46:47], -v[38:39], v[40:41], 1.0
	v_fmac_f64_e32 v[40:41], v[40:41], v[46:47]
	v_mul_f64 v[46:47], v[44:45], v[40:41]
	v_fma_f64 v[38:39], -v[38:39], v[46:47], v[44:45]
	v_div_fmas_f64 v[38:39], v[38:39], v[40:41], v[46:47]
	v_div_fixup_f64 v[36:37], v[38:39], v[34:35], v[36:37]
	v_fma_f64 v[36:37], v[36:37], v[36:37], 1.0
	v_cmp_gt_f64_e32 vcc, s[2:3], v[36:37]
	s_nop 1
	v_cndmask_b32_e32 v25, 0, v23, vcc
	v_ldexp_f64 v[36:37], v[36:37], v25
	v_rsq_f64_e32 v[38:39], v[36:37]
	v_cndmask_b32_e32 v25, 0, v42, vcc
	v_cmp_class_f64_e32 vcc, v[36:37], v1
	v_mul_f64 v[40:41], v[36:37], v[38:39]
	v_mul_f64 v[38:39], v[38:39], 0.5
	v_fma_f64 v[44:45], -v[38:39], v[40:41], 0.5
	v_fmac_f64_e32 v[40:41], v[40:41], v[44:45]
	v_fma_f64 v[46:47], -v[40:41], v[40:41], v[36:37]
	v_fmac_f64_e32 v[38:39], v[38:39], v[44:45]
	v_fmac_f64_e32 v[40:41], v[46:47], v[38:39]
	v_fma_f64 v[44:45], -v[40:41], v[40:41], v[36:37]
	v_fmac_f64_e32 v[40:41], v[44:45], v[38:39]
	v_ldexp_f64 v[38:39], v[40:41], v25
	v_cndmask_b32_e32 v37, v39, v37, vcc
	v_cndmask_b32_e32 v36, v38, v36, vcc
	v_mul_f64 v[38:39], v[34:35], v[36:37]
	s_branch .LBB11_3
.LBB11_10:
	s_mul_i32 s0, s14, s22
	v_add_u32_e32 v2, s0, v22
	v_ashrrev_i32_e32 v3, 31, v2
	v_lshlrev_b64 v[2:3], 4, v[2:3]
	s_waitcnt lgkmcnt(0)
	v_lshl_add_u64 v[10:11], s[4:5], 0, v[2:3]
	v_lshl_add_u64 v[18:19], s[10:11], 0, v[2:3]
	global_load_dwordx4 v[2:5], v[10:11], off
	global_load_dwordx4 v[6:9], v[18:19], off
	s_sub_i32 s1, s0, s14
	v_add_u32_e32 v10, s1, v22
	v_ashrrev_i32_e32 v11, 31, v10
	v_lshlrev_b64 v[10:11], 4, v[10:11]
	v_lshl_add_u64 v[24:25], s[6:7], 0, v[10:11]
	v_lshl_add_u64 v[20:21], s[10:11], 0, v[10:11]
	;; [unrolled: 1-line block ×3, first 2 shown]
	global_load_dwordx4 v[10:13], v[24:25], off
	global_load_dwordx4 v[14:17], v[26:27], off
	s_cmp_lt_i32 s12, 3
	s_waitcnt vmcnt(3)
	v_mul_f64 v[24:25], v[4:5], v[4:5]
	s_waitcnt vmcnt(2)
	v_mul_f64 v[26:27], v[4:5], v[8:9]
	v_fmac_f64_e32 v[24:25], v[2:3], v[2:3]
	v_mul_f64 v[4:5], v[4:5], -v[6:7]
	v_fmac_f64_e32 v[26:27], v[6:7], v[2:3]
	v_div_scale_f64 v[6:7], s[2:3], v[24:25], v[24:25], 1.0
	v_rcp_f64_e32 v[28:29], v[6:7]
	v_fmac_f64_e32 v[4:5], v[8:9], v[2:3]
	v_div_scale_f64 v[2:3], vcc, 1.0, v[24:25], 1.0
	v_fma_f64 v[8:9], -v[6:7], v[28:29], 1.0
	v_fmac_f64_e32 v[28:29], v[28:29], v[8:9]
	v_fma_f64 v[8:9], -v[6:7], v[28:29], 1.0
	v_fmac_f64_e32 v[28:29], v[28:29], v[8:9]
	v_mul_f64 v[8:9], v[2:3], v[28:29]
	v_fma_f64 v[2:3], -v[6:7], v[8:9], v[2:3]
	v_div_fmas_f64 v[2:3], v[2:3], v[28:29], v[8:9]
	v_div_fixup_f64 v[6:7], v[2:3], v[24:25], 1.0
	v_mul_f64 v[2:3], v[6:7], v[26:27]
	v_mul_f64 v[4:5], v[6:7], v[4:5]
	global_store_dwordx4 v[18:19], v[2:5], off
	global_load_dwordx4 v[6:9], v[20:21], off
	s_waitcnt vmcnt(2)
	v_mul_f64 v[18:19], v[16:17], v[16:17]
	v_fmac_f64_e32 v[18:19], v[14:15], v[14:15]
	v_div_scale_f64 v[24:25], s[2:3], v[18:19], v[18:19], 1.0
	v_rcp_f64_e32 v[26:27], v[24:25]
	v_div_scale_f64 v[28:29], vcc, 1.0, v[18:19], 1.0
	v_fma_f64 v[30:31], -v[24:25], v[26:27], 1.0
	v_fmac_f64_e32 v[26:27], v[26:27], v[30:31]
	v_fma_f64 v[30:31], -v[24:25], v[26:27], 1.0
	v_fmac_f64_e32 v[26:27], v[26:27], v[30:31]
	v_mul_f64 v[30:31], v[28:29], v[26:27]
	v_fma_f64 v[24:25], -v[24:25], v[30:31], v[28:29]
	v_div_fmas_f64 v[24:25], v[24:25], v[26:27], v[30:31]
	v_div_fixup_f64 v[18:19], v[24:25], v[18:19], 1.0
	v_mul_f64 v[24:25], v[4:5], -v[12:13]
	v_mul_f64 v[4:5], v[4:5], v[10:11]
	v_fmac_f64_e32 v[24:25], v[10:11], v[2:3]
	v_fmac_f64_e32 v[4:5], v[12:13], v[2:3]
	s_waitcnt vmcnt(0)
	v_add_f64 v[2:3], v[6:7], -v[24:25]
	v_add_f64 v[4:5], v[8:9], -v[4:5]
	v_mul_f64 v[6:7], v[4:5], v[16:17]
	v_mul_f64 v[8:9], v[16:17], -v[2:3]
	v_fmac_f64_e32 v[6:7], v[2:3], v[14:15]
	v_fmac_f64_e32 v[8:9], v[4:5], v[14:15]
	v_mul_f64 v[2:3], v[6:7], v[18:19]
	v_mul_f64 v[4:5], v[8:9], v[18:19]
	global_store_dwordx4 v[20:21], v[2:5], off
	s_cbranch_scc1 .LBB11_13
; %bb.11:
	s_add_i32 s3, s12, -3
	s_mul_i32 s2, s13, s3
	s_add_i32 s1, s12, -2
	s_add_i32 s15, s15, s2
	v_add_u32_e32 v0, s15, v0
	s_mul_i32 s2, s14, s1
	s_mul_i32 s3, s14, s3
.LBB11_12:                              ; =>This Inner Loop Header: Depth=1
	s_nop 0
	v_add_u32_e32 v4, s2, v22
	v_add_u32_e32 v2, s3, v22
	;; [unrolled: 1-line block ×3, first 2 shown]
	v_ashrrev_i32_e32 v1, 31, v0
	v_ashrrev_i32_e32 v5, 31, v4
	;; [unrolled: 1-line block ×3, first 2 shown]
	v_lshl_add_u64 v[8:9], v[0:1], 4, s[8:9]
	v_ashrrev_i32_e32 v7, 31, v6
	v_lshl_add_u64 v[16:17], v[4:5], 4, s[10:11]
	v_lshlrev_b64 v[14:15], 4, v[2:3]
	v_lshl_add_u64 v[18:19], v[6:7], 4, s[10:11]
	global_load_dwordx4 v[2:5], v[8:9], off
	s_nop 0
	global_load_dwordx4 v[6:9], v[16:17], off
	global_load_dwordx4 v[10:13], v[18:19], off
	v_lshl_add_u64 v[30:31], s[6:7], 0, v[14:15]
	v_lshl_add_u64 v[28:29], s[10:11], 0, v[14:15]
	;; [unrolled: 1-line block ×3, first 2 shown]
	global_load_dwordx4 v[14:17], v[30:31], off
	global_load_dwordx4 v[18:21], v[32:33], off
	;; [unrolled: 1-line block ×3, first 2 shown]
	s_add_i32 s1, s1, -1
	v_subrev_u32_e32 v22, s14, v22
	v_subrev_u32_e32 v0, s13, v0
	s_cmp_lg_u32 s1, 0
	s_waitcnt vmcnt(3)
	v_mul_f64 v[30:31], v[12:13], -v[4:5]
	v_mul_f64 v[12:13], v[12:13], v[2:3]
	s_waitcnt vmcnt(2)
	v_mul_f64 v[32:33], v[8:9], -v[16:17]
	v_mul_f64 v[8:9], v[8:9], v[14:15]
	v_fmac_f64_e32 v[30:31], v[2:3], v[10:11]
	s_waitcnt vmcnt(1)
	v_mul_f64 v[2:3], v[20:21], v[20:21]
	v_fmac_f64_e32 v[8:9], v[16:17], v[6:7]
	v_fmac_f64_e32 v[2:3], v[18:19], v[18:19]
	;; [unrolled: 1-line block ×4, first 2 shown]
	s_waitcnt vmcnt(0)
	v_add_f64 v[6:7], v[26:27], -v[8:9]
	v_div_scale_f64 v[8:9], s[16:17], v[2:3], v[2:3], 1.0
	v_add_f64 v[6:7], v[6:7], -v[12:13]
	v_rcp_f64_e32 v[12:13], v[8:9]
	v_add_f64 v[4:5], v[24:25], -v[32:33]
	v_add_f64 v[4:5], v[4:5], -v[30:31]
	v_mul_f64 v[14:15], v[20:21], v[6:7]
	v_mul_f64 v[16:17], v[20:21], -v[4:5]
	v_fmac_f64_e32 v[14:15], v[4:5], v[18:19]
	v_fma_f64 v[4:5], -v[8:9], v[12:13], 1.0
	v_fmac_f64_e32 v[12:13], v[12:13], v[4:5]
	v_fma_f64 v[4:5], -v[8:9], v[12:13], 1.0
	v_div_scale_f64 v[10:11], vcc, 1.0, v[2:3], 1.0
	v_fmac_f64_e32 v[12:13], v[12:13], v[4:5]
	v_mul_f64 v[4:5], v[10:11], v[12:13]
	v_fmac_f64_e32 v[16:17], v[6:7], v[18:19]
	v_fma_f64 v[6:7], -v[8:9], v[4:5], v[10:11]
	v_div_fmas_f64 v[4:5], v[6:7], v[12:13], v[4:5]
	v_div_fixup_f64 v[4:5], v[4:5], v[2:3], 1.0
	v_mul_f64 v[2:3], v[14:15], v[4:5]
	v_mul_f64 v[4:5], v[4:5], v[16:17]
	global_store_dwordx4 v[28:29], v[2:5], off
	s_cbranch_scc1 .LBB11_12
.LBB11_13:
	s_endpgm
	.section	.rodata,"a",@progbits
	.p2align	6, 0x0
	.amdhsa_kernel _ZN9rocsparseL32gtsv_interleaved_batch_qr_kernelILj128E21rocsparse_complex_numIdEEEviiiPKT0_PS3_S6_S6_S6_
		.amdhsa_group_segment_fixed_size 0
		.amdhsa_private_segment_fixed_size 0
		.amdhsa_kernarg_size 56
		.amdhsa_user_sgpr_count 2
		.amdhsa_user_sgpr_dispatch_ptr 0
		.amdhsa_user_sgpr_queue_ptr 0
		.amdhsa_user_sgpr_kernarg_segment_ptr 1
		.amdhsa_user_sgpr_dispatch_id 0
		.amdhsa_user_sgpr_kernarg_preload_length 0
		.amdhsa_user_sgpr_kernarg_preload_offset 0
		.amdhsa_user_sgpr_private_segment_size 0
		.amdhsa_uses_dynamic_stack 0
		.amdhsa_enable_private_segment 0
		.amdhsa_system_sgpr_workgroup_id_x 1
		.amdhsa_system_sgpr_workgroup_id_y 0
		.amdhsa_system_sgpr_workgroup_id_z 0
		.amdhsa_system_sgpr_workgroup_info 0
		.amdhsa_system_vgpr_workitem_id 0
		.amdhsa_next_free_vgpr 64
		.amdhsa_next_free_sgpr 26
		.amdhsa_accum_offset 64
		.amdhsa_reserve_vcc 1
		.amdhsa_float_round_mode_32 0
		.amdhsa_float_round_mode_16_64 0
		.amdhsa_float_denorm_mode_32 3
		.amdhsa_float_denorm_mode_16_64 3
		.amdhsa_dx10_clamp 1
		.amdhsa_ieee_mode 1
		.amdhsa_fp16_overflow 0
		.amdhsa_tg_split 0
		.amdhsa_exception_fp_ieee_invalid_op 0
		.amdhsa_exception_fp_denorm_src 0
		.amdhsa_exception_fp_ieee_div_zero 0
		.amdhsa_exception_fp_ieee_overflow 0
		.amdhsa_exception_fp_ieee_underflow 0
		.amdhsa_exception_fp_ieee_inexact 0
		.amdhsa_exception_int_div_zero 0
	.end_amdhsa_kernel
	.section	.text._ZN9rocsparseL32gtsv_interleaved_batch_qr_kernelILj128E21rocsparse_complex_numIdEEEviiiPKT0_PS3_S6_S6_S6_,"axG",@progbits,_ZN9rocsparseL32gtsv_interleaved_batch_qr_kernelILj128E21rocsparse_complex_numIdEEEviiiPKT0_PS3_S6_S6_S6_,comdat
.Lfunc_end11:
	.size	_ZN9rocsparseL32gtsv_interleaved_batch_qr_kernelILj128E21rocsparse_complex_numIdEEEviiiPKT0_PS3_S6_S6_S6_, .Lfunc_end11-_ZN9rocsparseL32gtsv_interleaved_batch_qr_kernelILj128E21rocsparse_complex_numIdEEEviiiPKT0_PS3_S6_S6_S6_
                                        ; -- End function
	.set _ZN9rocsparseL32gtsv_interleaved_batch_qr_kernelILj128E21rocsparse_complex_numIdEEEviiiPKT0_PS3_S6_S6_S6_.num_vgpr, 64
	.set _ZN9rocsparseL32gtsv_interleaved_batch_qr_kernelILj128E21rocsparse_complex_numIdEEEviiiPKT0_PS3_S6_S6_S6_.num_agpr, 0
	.set _ZN9rocsparseL32gtsv_interleaved_batch_qr_kernelILj128E21rocsparse_complex_numIdEEEviiiPKT0_PS3_S6_S6_S6_.numbered_sgpr, 26
	.set _ZN9rocsparseL32gtsv_interleaved_batch_qr_kernelILj128E21rocsparse_complex_numIdEEEviiiPKT0_PS3_S6_S6_S6_.num_named_barrier, 0
	.set _ZN9rocsparseL32gtsv_interleaved_batch_qr_kernelILj128E21rocsparse_complex_numIdEEEviiiPKT0_PS3_S6_S6_S6_.private_seg_size, 0
	.set _ZN9rocsparseL32gtsv_interleaved_batch_qr_kernelILj128E21rocsparse_complex_numIdEEEviiiPKT0_PS3_S6_S6_S6_.uses_vcc, 1
	.set _ZN9rocsparseL32gtsv_interleaved_batch_qr_kernelILj128E21rocsparse_complex_numIdEEEviiiPKT0_PS3_S6_S6_S6_.uses_flat_scratch, 0
	.set _ZN9rocsparseL32gtsv_interleaved_batch_qr_kernelILj128E21rocsparse_complex_numIdEEEviiiPKT0_PS3_S6_S6_S6_.has_dyn_sized_stack, 0
	.set _ZN9rocsparseL32gtsv_interleaved_batch_qr_kernelILj128E21rocsparse_complex_numIdEEEviiiPKT0_PS3_S6_S6_S6_.has_recursion, 0
	.set _ZN9rocsparseL32gtsv_interleaved_batch_qr_kernelILj128E21rocsparse_complex_numIdEEEviiiPKT0_PS3_S6_S6_S6_.has_indirect_call, 0
	.section	.AMDGPU.csdata,"",@progbits
; Kernel info:
; codeLenInByte = 2376
; TotalNumSgprs: 32
; NumVgprs: 64
; NumAgprs: 0
; TotalNumVgprs: 64
; ScratchSize: 0
; MemoryBound: 1
; FloatMode: 240
; IeeeMode: 1
; LDSByteSize: 0 bytes/workgroup (compile time only)
; SGPRBlocks: 3
; VGPRBlocks: 7
; NumSGPRsForWavesPerEU: 32
; NumVGPRsForWavesPerEU: 64
; AccumOffset: 64
; Occupancy: 8
; WaveLimiterHint : 0
; COMPUTE_PGM_RSRC2:SCRATCH_EN: 0
; COMPUTE_PGM_RSRC2:USER_SGPR: 2
; COMPUTE_PGM_RSRC2:TRAP_HANDLER: 0
; COMPUTE_PGM_RSRC2:TGID_X_EN: 1
; COMPUTE_PGM_RSRC2:TGID_Y_EN: 0
; COMPUTE_PGM_RSRC2:TGID_Z_EN: 0
; COMPUTE_PGM_RSRC2:TIDIG_COMP_CNT: 0
; COMPUTE_PGM_RSRC3_GFX90A:ACCUM_OFFSET: 15
; COMPUTE_PGM_RSRC3_GFX90A:TG_SPLIT: 0
	.section	.AMDGPU.gpr_maximums,"",@progbits
	.set amdgpu.max_num_vgpr, 0
	.set amdgpu.max_num_agpr, 0
	.set amdgpu.max_num_sgpr, 0
	.section	.AMDGPU.csdata,"",@progbits
	.type	__hip_cuid_80bed8ff5bae206a,@object ; @__hip_cuid_80bed8ff5bae206a
	.section	.bss,"aw",@nobits
	.globl	__hip_cuid_80bed8ff5bae206a
__hip_cuid_80bed8ff5bae206a:
	.byte	0                               ; 0x0
	.size	__hip_cuid_80bed8ff5bae206a, 1

	.ident	"AMD clang version 22.0.0git (https://github.com/RadeonOpenCompute/llvm-project roc-7.2.4 26084 f58b06dce1f9c15707c5f808fd002e18c2accf7e)"
	.section	".note.GNU-stack","",@progbits
	.addrsig
	.addrsig_sym __hip_cuid_80bed8ff5bae206a
	.amdgpu_metadata
---
amdhsa.kernels:
  - .agpr_count:     0
    .args:
      - .offset:         0
        .size:           4
        .value_kind:     by_value
      - .offset:         4
        .size:           4
        .value_kind:     by_value
      - .offset:         8
        .size:           4
        .value_kind:     by_value
      - .actual_access:  read_only
        .address_space:  global
        .offset:         16
        .size:           8
        .value_kind:     global_buffer
      - .actual_access:  read_only
        .address_space:  global
        .offset:         24
        .size:           8
        .value_kind:     global_buffer
      - .actual_access:  read_only
        .address_space:  global
        .offset:         32
        .size:           8
        .value_kind:     global_buffer
      - .address_space:  global
        .offset:         40
        .size:           8
        .value_kind:     global_buffer
      - .address_space:  global
        .offset:         48
        .size:           8
        .value_kind:     global_buffer
      - .address_space:  global
        .offset:         56
        .size:           8
        .value_kind:     global_buffer
    .group_segment_fixed_size: 0
    .kernarg_segment_align: 8
    .kernarg_segment_size: 64
    .language:       OpenCL C
    .language_version:
      - 2
      - 0
    .max_flat_workgroup_size: 128
    .name:           _ZN9rocsparseL36gtsv_interleaved_batch_thomas_kernelILj128EfEEviiiPKT0_S3_S3_PS1_S4_S4_
    .private_segment_fixed_size: 0
    .sgpr_count:     34
    .sgpr_spill_count: 0
    .symbol:         _ZN9rocsparseL36gtsv_interleaved_batch_thomas_kernelILj128EfEEviiiPKT0_S3_S3_PS1_S4_S4_.kd
    .uniform_work_group_size: 1
    .uses_dynamic_stack: false
    .vgpr_count:     26
    .vgpr_spill_count: 0
    .wavefront_size: 64
  - .agpr_count:     0
    .args:
      - .offset:         0
        .size:           4
        .value_kind:     by_value
      - .offset:         4
        .size:           4
        .value_kind:     by_value
      - .offset:         8
        .size:           4
        .value_kind:     by_value
      - .address_space:  global
        .offset:         16
        .size:           8
        .value_kind:     global_buffer
      - .address_space:  global
        .offset:         24
        .size:           8
        .value_kind:     global_buffer
      - .address_space:  global
        .offset:         32
        .size:           8
        .value_kind:     global_buffer
      - .address_space:  global
        .offset:         40
        .size:           8
        .value_kind:     global_buffer
      - .address_space:  global
        .offset:         48
        .size:           8
        .value_kind:     global_buffer
      - .address_space:  global
        .offset:         56
        .size:           8
        .value_kind:     global_buffer
    .group_segment_fixed_size: 0
    .kernarg_segment_align: 8
    .kernarg_segment_size: 64
    .language:       OpenCL C
    .language_version:
      - 2
      - 0
    .max_flat_workgroup_size: 128
    .name:           _ZN9rocsparseL32gtsv_interleaved_batch_lu_kernelILj128EfEEviiiPT0_S2_S2_S2_PiS2_
    .private_segment_fixed_size: 0
    .sgpr_count:     32
    .sgpr_spill_count: 0
    .symbol:         _ZN9rocsparseL32gtsv_interleaved_batch_lu_kernelILj128EfEEviiiPT0_S2_S2_S2_PiS2_.kd
    .uniform_work_group_size: 1
    .uses_dynamic_stack: false
    .vgpr_count:     33
    .vgpr_spill_count: 0
    .wavefront_size: 64
  - .agpr_count:     0
    .args:
      - .offset:         0
        .size:           4
        .value_kind:     by_value
      - .offset:         4
        .size:           4
        .value_kind:     by_value
      - .offset:         8
        .size:           4
        .value_kind:     by_value
      - .actual_access:  read_only
        .address_space:  global
        .offset:         16
        .size:           8
        .value_kind:     global_buffer
      - .address_space:  global
        .offset:         24
        .size:           8
        .value_kind:     global_buffer
      - .address_space:  global
        .offset:         32
        .size:           8
        .value_kind:     global_buffer
      - .address_space:  global
        .offset:         40
        .size:           8
        .value_kind:     global_buffer
      - .address_space:  global
        .offset:         48
        .size:           8
        .value_kind:     global_buffer
    .group_segment_fixed_size: 0
    .kernarg_segment_align: 8
    .kernarg_segment_size: 56
    .language:       OpenCL C
    .language_version:
      - 2
      - 0
    .max_flat_workgroup_size: 128
    .name:           _ZN9rocsparseL32gtsv_interleaved_batch_qr_kernelILj128EfEEviiiPKT0_PS1_S4_S4_S4_
    .private_segment_fixed_size: 0
    .sgpr_count:     25
    .sgpr_spill_count: 0
    .symbol:         _ZN9rocsparseL32gtsv_interleaved_batch_qr_kernelILj128EfEEviiiPKT0_PS1_S4_S4_S4_.kd
    .uniform_work_group_size: 1
    .uses_dynamic_stack: false
    .vgpr_count:     37
    .vgpr_spill_count: 0
    .wavefront_size: 64
  - .agpr_count:     0
    .args:
      - .offset:         0
        .size:           4
        .value_kind:     by_value
      - .offset:         4
        .size:           4
        .value_kind:     by_value
      - .offset:         8
        .size:           4
        .value_kind:     by_value
      - .actual_access:  read_only
        .address_space:  global
        .offset:         16
        .size:           8
        .value_kind:     global_buffer
      - .actual_access:  read_only
        .address_space:  global
        .offset:         24
        .size:           8
        .value_kind:     global_buffer
      - .actual_access:  read_only
        .address_space:  global
        .offset:         32
        .size:           8
        .value_kind:     global_buffer
      - .address_space:  global
        .offset:         40
        .size:           8
        .value_kind:     global_buffer
      - .address_space:  global
        .offset:         48
        .size:           8
        .value_kind:     global_buffer
      - .address_space:  global
        .offset:         56
        .size:           8
        .value_kind:     global_buffer
    .group_segment_fixed_size: 0
    .kernarg_segment_align: 8
    .kernarg_segment_size: 64
    .language:       OpenCL C
    .language_version:
      - 2
      - 0
    .max_flat_workgroup_size: 128
    .name:           _ZN9rocsparseL36gtsv_interleaved_batch_thomas_kernelILj128EdEEviiiPKT0_S3_S3_PS1_S4_S4_
    .private_segment_fixed_size: 0
    .sgpr_count:     34
    .sgpr_spill_count: 0
    .symbol:         _ZN9rocsparseL36gtsv_interleaved_batch_thomas_kernelILj128EdEEviiiPKT0_S3_S3_PS1_S4_S4_.kd
    .uniform_work_group_size: 1
    .uses_dynamic_stack: false
    .vgpr_count:     36
    .vgpr_spill_count: 0
    .wavefront_size: 64
  - .agpr_count:     0
    .args:
      - .offset:         0
        .size:           4
        .value_kind:     by_value
      - .offset:         4
        .size:           4
        .value_kind:     by_value
      - .offset:         8
        .size:           4
        .value_kind:     by_value
      - .address_space:  global
        .offset:         16
        .size:           8
        .value_kind:     global_buffer
      - .address_space:  global
        .offset:         24
        .size:           8
        .value_kind:     global_buffer
      - .address_space:  global
        .offset:         32
        .size:           8
        .value_kind:     global_buffer
      - .address_space:  global
        .offset:         40
        .size:           8
        .value_kind:     global_buffer
      - .address_space:  global
        .offset:         48
        .size:           8
        .value_kind:     global_buffer
      - .address_space:  global
        .offset:         56
        .size:           8
        .value_kind:     global_buffer
    .group_segment_fixed_size: 0
    .kernarg_segment_align: 8
    .kernarg_segment_size: 64
    .language:       OpenCL C
    .language_version:
      - 2
      - 0
    .max_flat_workgroup_size: 128
    .name:           _ZN9rocsparseL32gtsv_interleaved_batch_lu_kernelILj128EdEEviiiPT0_S2_S2_S2_PiS2_
    .private_segment_fixed_size: 0
    .sgpr_count:     32
    .sgpr_spill_count: 0
    .symbol:         _ZN9rocsparseL32gtsv_interleaved_batch_lu_kernelILj128EdEEviiiPT0_S2_S2_S2_PiS2_.kd
    .uniform_work_group_size: 1
    .uses_dynamic_stack: false
    .vgpr_count:     44
    .vgpr_spill_count: 0
    .wavefront_size: 64
  - .agpr_count:     0
    .args:
      - .offset:         0
        .size:           4
        .value_kind:     by_value
      - .offset:         4
        .size:           4
        .value_kind:     by_value
      - .offset:         8
        .size:           4
        .value_kind:     by_value
      - .actual_access:  read_only
        .address_space:  global
        .offset:         16
        .size:           8
        .value_kind:     global_buffer
      - .address_space:  global
        .offset:         24
        .size:           8
        .value_kind:     global_buffer
      - .address_space:  global
        .offset:         32
        .size:           8
        .value_kind:     global_buffer
      - .address_space:  global
        .offset:         40
        .size:           8
        .value_kind:     global_buffer
      - .address_space:  global
        .offset:         48
        .size:           8
        .value_kind:     global_buffer
    .group_segment_fixed_size: 0
    .kernarg_segment_align: 8
    .kernarg_segment_size: 56
    .language:       OpenCL C
    .language_version:
      - 2
      - 0
    .max_flat_workgroup_size: 128
    .name:           _ZN9rocsparseL32gtsv_interleaved_batch_qr_kernelILj128EdEEviiiPKT0_PS1_S4_S4_S4_
    .private_segment_fixed_size: 0
    .sgpr_count:     26
    .sgpr_spill_count: 0
    .symbol:         _ZN9rocsparseL32gtsv_interleaved_batch_qr_kernelILj128EdEEviiiPKT0_PS1_S4_S4_S4_.kd
    .uniform_work_group_size: 1
    .uses_dynamic_stack: false
    .vgpr_count:     56
    .vgpr_spill_count: 0
    .wavefront_size: 64
  - .agpr_count:     0
    .args:
      - .offset:         0
        .size:           4
        .value_kind:     by_value
      - .offset:         4
        .size:           4
        .value_kind:     by_value
      - .offset:         8
        .size:           4
        .value_kind:     by_value
      - .actual_access:  read_only
        .address_space:  global
        .offset:         16
        .size:           8
        .value_kind:     global_buffer
      - .actual_access:  read_only
        .address_space:  global
        .offset:         24
        .size:           8
        .value_kind:     global_buffer
      - .actual_access:  read_only
        .address_space:  global
        .offset:         32
        .size:           8
        .value_kind:     global_buffer
      - .address_space:  global
        .offset:         40
        .size:           8
        .value_kind:     global_buffer
      - .address_space:  global
        .offset:         48
        .size:           8
        .value_kind:     global_buffer
      - .address_space:  global
        .offset:         56
        .size:           8
        .value_kind:     global_buffer
    .group_segment_fixed_size: 0
    .kernarg_segment_align: 8
    .kernarg_segment_size: 64
    .language:       OpenCL C
    .language_version:
      - 2
      - 0
    .max_flat_workgroup_size: 128
    .name:           _ZN9rocsparseL36gtsv_interleaved_batch_thomas_kernelILj128E21rocsparse_complex_numIfEEEviiiPKT0_S5_S5_PS3_S6_S6_
    .private_segment_fixed_size: 0
    .sgpr_count:     34
    .sgpr_spill_count: 0
    .symbol:         _ZN9rocsparseL36gtsv_interleaved_batch_thomas_kernelILj128E21rocsparse_complex_numIfEEEviiiPKT0_S5_S5_PS3_S6_S6_.kd
    .uniform_work_group_size: 1
    .uses_dynamic_stack: false
    .vgpr_count:     31
    .vgpr_spill_count: 0
    .wavefront_size: 64
  - .agpr_count:     0
    .args:
      - .offset:         0
        .size:           4
        .value_kind:     by_value
      - .offset:         4
        .size:           4
        .value_kind:     by_value
      - .offset:         8
        .size:           4
        .value_kind:     by_value
      - .address_space:  global
        .offset:         16
        .size:           8
        .value_kind:     global_buffer
      - .address_space:  global
        .offset:         24
        .size:           8
        .value_kind:     global_buffer
      - .address_space:  global
        .offset:         32
        .size:           8
        .value_kind:     global_buffer
      - .address_space:  global
        .offset:         40
        .size:           8
        .value_kind:     global_buffer
      - .address_space:  global
        .offset:         48
        .size:           8
        .value_kind:     global_buffer
      - .address_space:  global
        .offset:         56
        .size:           8
        .value_kind:     global_buffer
    .group_segment_fixed_size: 0
    .kernarg_segment_align: 8
    .kernarg_segment_size: 64
    .language:       OpenCL C
    .language_version:
      - 2
      - 0
    .max_flat_workgroup_size: 128
    .name:           _ZN9rocsparseL32gtsv_interleaved_batch_lu_kernelILj128E21rocsparse_complex_numIfEEEviiiPT0_S4_S4_S4_PiS4_
    .private_segment_fixed_size: 0
    .sgpr_count:     32
    .sgpr_spill_count: 0
    .symbol:         _ZN9rocsparseL32gtsv_interleaved_batch_lu_kernelILj128E21rocsparse_complex_numIfEEEviiiPT0_S4_S4_S4_PiS4_.kd
    .uniform_work_group_size: 1
    .uses_dynamic_stack: false
    .vgpr_count:     44
    .vgpr_spill_count: 0
    .wavefront_size: 64
  - .agpr_count:     0
    .args:
      - .offset:         0
        .size:           4
        .value_kind:     by_value
      - .offset:         4
        .size:           4
        .value_kind:     by_value
      - .offset:         8
        .size:           4
        .value_kind:     by_value
      - .actual_access:  read_only
        .address_space:  global
        .offset:         16
        .size:           8
        .value_kind:     global_buffer
      - .address_space:  global
        .offset:         24
        .size:           8
        .value_kind:     global_buffer
      - .address_space:  global
        .offset:         32
        .size:           8
        .value_kind:     global_buffer
      - .address_space:  global
        .offset:         40
        .size:           8
        .value_kind:     global_buffer
      - .address_space:  global
        .offset:         48
        .size:           8
        .value_kind:     global_buffer
    .group_segment_fixed_size: 0
    .kernarg_segment_align: 8
    .kernarg_segment_size: 56
    .language:       OpenCL C
    .language_version:
      - 2
      - 0
    .max_flat_workgroup_size: 128
    .name:           _ZN9rocsparseL32gtsv_interleaved_batch_qr_kernelILj128E21rocsparse_complex_numIfEEEviiiPKT0_PS3_S6_S6_S6_
    .private_segment_fixed_size: 0
    .sgpr_count:     29
    .sgpr_spill_count: 0
    .symbol:         _ZN9rocsparseL32gtsv_interleaved_batch_qr_kernelILj128E21rocsparse_complex_numIfEEEviiiPKT0_PS3_S6_S6_S6_.kd
    .uniform_work_group_size: 1
    .uses_dynamic_stack: false
    .vgpr_count:     48
    .vgpr_spill_count: 0
    .wavefront_size: 64
  - .agpr_count:     0
    .args:
      - .offset:         0
        .size:           4
        .value_kind:     by_value
      - .offset:         4
        .size:           4
        .value_kind:     by_value
      - .offset:         8
        .size:           4
        .value_kind:     by_value
      - .actual_access:  read_only
        .address_space:  global
        .offset:         16
        .size:           8
        .value_kind:     global_buffer
      - .actual_access:  read_only
        .address_space:  global
        .offset:         24
        .size:           8
        .value_kind:     global_buffer
      - .actual_access:  read_only
        .address_space:  global
        .offset:         32
        .size:           8
        .value_kind:     global_buffer
      - .address_space:  global
        .offset:         40
        .size:           8
        .value_kind:     global_buffer
      - .address_space:  global
        .offset:         48
        .size:           8
        .value_kind:     global_buffer
      - .address_space:  global
        .offset:         56
        .size:           8
        .value_kind:     global_buffer
    .group_segment_fixed_size: 0
    .kernarg_segment_align: 8
    .kernarg_segment_size: 64
    .language:       OpenCL C
    .language_version:
      - 2
      - 0
    .max_flat_workgroup_size: 128
    .name:           _ZN9rocsparseL36gtsv_interleaved_batch_thomas_kernelILj128E21rocsparse_complex_numIdEEEviiiPKT0_S5_S5_PS3_S6_S6_
    .private_segment_fixed_size: 0
    .sgpr_count:     32
    .sgpr_spill_count: 0
    .symbol:         _ZN9rocsparseL36gtsv_interleaved_batch_thomas_kernelILj128E21rocsparse_complex_numIdEEEviiiPKT0_S5_S5_PS3_S6_S6_.kd
    .uniform_work_group_size: 1
    .uses_dynamic_stack: false
    .vgpr_count:     42
    .vgpr_spill_count: 0
    .wavefront_size: 64
  - .agpr_count:     0
    .args:
      - .offset:         0
        .size:           4
        .value_kind:     by_value
      - .offset:         4
        .size:           4
        .value_kind:     by_value
      - .offset:         8
        .size:           4
        .value_kind:     by_value
      - .address_space:  global
        .offset:         16
        .size:           8
        .value_kind:     global_buffer
      - .address_space:  global
        .offset:         24
        .size:           8
        .value_kind:     global_buffer
      - .address_space:  global
        .offset:         32
        .size:           8
        .value_kind:     global_buffer
      - .address_space:  global
        .offset:         40
        .size:           8
        .value_kind:     global_buffer
      - .address_space:  global
        .offset:         48
        .size:           8
        .value_kind:     global_buffer
      - .address_space:  global
        .offset:         56
        .size:           8
        .value_kind:     global_buffer
    .group_segment_fixed_size: 10240
    .kernarg_segment_align: 8
    .kernarg_segment_size: 64
    .language:       OpenCL C
    .language_version:
      - 2
      - 0
    .max_flat_workgroup_size: 128
    .name:           _ZN9rocsparseL32gtsv_interleaved_batch_lu_kernelILj128E21rocsparse_complex_numIdEEEviiiPT0_S4_S4_S4_PiS4_
    .private_segment_fixed_size: 0
    .sgpr_count:     34
    .sgpr_spill_count: 0
    .symbol:         _ZN9rocsparseL32gtsv_interleaved_batch_lu_kernelILj128E21rocsparse_complex_numIdEEEviiiPT0_S4_S4_S4_PiS4_.kd
    .uniform_work_group_size: 1
    .uses_dynamic_stack: false
    .vgpr_count:     56
    .vgpr_spill_count: 0
    .wavefront_size: 64
  - .agpr_count:     0
    .args:
      - .offset:         0
        .size:           4
        .value_kind:     by_value
      - .offset:         4
        .size:           4
        .value_kind:     by_value
      - .offset:         8
        .size:           4
        .value_kind:     by_value
      - .actual_access:  read_only
        .address_space:  global
        .offset:         16
        .size:           8
        .value_kind:     global_buffer
      - .address_space:  global
        .offset:         24
        .size:           8
        .value_kind:     global_buffer
      - .address_space:  global
        .offset:         32
        .size:           8
        .value_kind:     global_buffer
      - .address_space:  global
        .offset:         40
        .size:           8
        .value_kind:     global_buffer
      - .address_space:  global
        .offset:         48
        .size:           8
        .value_kind:     global_buffer
    .group_segment_fixed_size: 0
    .kernarg_segment_align: 8
    .kernarg_segment_size: 56
    .language:       OpenCL C
    .language_version:
      - 2
      - 0
    .max_flat_workgroup_size: 128
    .name:           _ZN9rocsparseL32gtsv_interleaved_batch_qr_kernelILj128E21rocsparse_complex_numIdEEEviiiPKT0_PS3_S6_S6_S6_
    .private_segment_fixed_size: 0
    .sgpr_count:     32
    .sgpr_spill_count: 0
    .symbol:         _ZN9rocsparseL32gtsv_interleaved_batch_qr_kernelILj128E21rocsparse_complex_numIdEEEviiiPKT0_PS3_S6_S6_S6_.kd
    .uniform_work_group_size: 1
    .uses_dynamic_stack: false
    .vgpr_count:     64
    .vgpr_spill_count: 0
    .wavefront_size: 64
amdhsa.target:   amdgcn-amd-amdhsa--gfx950
amdhsa.version:
  - 1
  - 2
...

	.end_amdgpu_metadata
